;; amdgpu-corpus repo=ROCm/rocFFT kind=compiled arch=gfx1201 opt=O3
	.text
	.amdgcn_target "amdgcn-amd-amdhsa--gfx1201"
	.amdhsa_code_object_version 6
	.protected	fft_rtc_fwd_len1512_factors_2_2_2_3_3_3_7_wgs_63_tpt_63_halfLds_half_op_CI_CI_unitstride_sbrr_R2C_dirReg ; -- Begin function fft_rtc_fwd_len1512_factors_2_2_2_3_3_3_7_wgs_63_tpt_63_halfLds_half_op_CI_CI_unitstride_sbrr_R2C_dirReg
	.globl	fft_rtc_fwd_len1512_factors_2_2_2_3_3_3_7_wgs_63_tpt_63_halfLds_half_op_CI_CI_unitstride_sbrr_R2C_dirReg
	.p2align	8
	.type	fft_rtc_fwd_len1512_factors_2_2_2_3_3_3_7_wgs_63_tpt_63_halfLds_half_op_CI_CI_unitstride_sbrr_R2C_dirReg,@function
fft_rtc_fwd_len1512_factors_2_2_2_3_3_3_7_wgs_63_tpt_63_halfLds_half_op_CI_CI_unitstride_sbrr_R2C_dirReg: ; @fft_rtc_fwd_len1512_factors_2_2_2_3_3_3_7_wgs_63_tpt_63_halfLds_half_op_CI_CI_unitstride_sbrr_R2C_dirReg
; %bb.0:
	s_clause 0x2
	s_load_b128 s[8:11], s[0:1], 0x0
	s_load_b128 s[4:7], s[0:1], 0x58
	;; [unrolled: 1-line block ×3, first 2 shown]
	v_mul_u32_u24_e32 v1, 0x411, v0
	v_dual_mov_b32 v3, 0 :: v_dual_mov_b32 v20, 0
	v_mov_b32_e32 v21, 0
	s_delay_alu instid0(VALU_DEP_3) | instskip(NEXT) | instid1(VALU_DEP_1)
	v_lshrrev_b32_e32 v1, 16, v1
	v_dual_mov_b32 v6, v3 :: v_dual_add_nc_u32 v5, ttmp9, v1
	s_wait_kmcnt 0x0
	v_cmp_lt_u64_e64 s2, s[10:11], 2
	s_delay_alu instid0(VALU_DEP_1)
	s_and_b32 vcc_lo, exec_lo, s2
	s_cbranch_vccnz .LBB0_8
; %bb.1:
	s_load_b64 s[2:3], s[0:1], 0x10
	v_mov_b32_e32 v20, 0
	v_mov_b32_e32 v21, 0
	s_delay_alu instid0(VALU_DEP_2)
	v_mov_b32_e32 v1, v20
	s_add_nc_u64 s[16:17], s[14:15], 8
	s_add_nc_u64 s[18:19], s[12:13], 8
	s_mov_b64 s[20:21], 1
	v_mov_b32_e32 v2, v21
	s_wait_kmcnt 0x0
	s_add_nc_u64 s[22:23], s[2:3], 8
	s_mov_b32 s3, 0
.LBB0_2:                                ; =>This Inner Loop Header: Depth=1
	s_load_b64 s[24:25], s[22:23], 0x0
                                        ; implicit-def: $vgpr7_vgpr8
	s_mov_b32 s2, exec_lo
	s_wait_kmcnt 0x0
	v_or_b32_e32 v4, s25, v6
	s_delay_alu instid0(VALU_DEP_1)
	v_cmpx_ne_u64_e32 0, v[3:4]
	s_wait_alu 0xfffe
	s_xor_b32 s26, exec_lo, s2
	s_cbranch_execz .LBB0_4
; %bb.3:                                ;   in Loop: Header=BB0_2 Depth=1
	s_cvt_f32_u32 s2, s24
	s_cvt_f32_u32 s27, s25
	s_sub_nc_u64 s[30:31], 0, s[24:25]
	s_wait_alu 0xfffe
	s_delay_alu instid0(SALU_CYCLE_1) | instskip(SKIP_1) | instid1(SALU_CYCLE_2)
	s_fmamk_f32 s2, s27, 0x4f800000, s2
	s_wait_alu 0xfffe
	v_s_rcp_f32 s2, s2
	s_delay_alu instid0(TRANS32_DEP_1) | instskip(SKIP_1) | instid1(SALU_CYCLE_2)
	s_mul_f32 s2, s2, 0x5f7ffffc
	s_wait_alu 0xfffe
	s_mul_f32 s27, s2, 0x2f800000
	s_wait_alu 0xfffe
	s_delay_alu instid0(SALU_CYCLE_2) | instskip(SKIP_1) | instid1(SALU_CYCLE_2)
	s_trunc_f32 s27, s27
	s_wait_alu 0xfffe
	s_fmamk_f32 s2, s27, 0xcf800000, s2
	s_cvt_u32_f32 s29, s27
	s_wait_alu 0xfffe
	s_delay_alu instid0(SALU_CYCLE_1) | instskip(SKIP_1) | instid1(SALU_CYCLE_2)
	s_cvt_u32_f32 s28, s2
	s_wait_alu 0xfffe
	s_mul_u64 s[34:35], s[30:31], s[28:29]
	s_wait_alu 0xfffe
	s_mul_hi_u32 s37, s28, s35
	s_mul_i32 s36, s28, s35
	s_mul_hi_u32 s2, s28, s34
	s_mul_i32 s33, s29, s34
	s_wait_alu 0xfffe
	s_add_nc_u64 s[36:37], s[2:3], s[36:37]
	s_mul_hi_u32 s27, s29, s34
	s_mul_hi_u32 s38, s29, s35
	s_add_co_u32 s2, s36, s33
	s_wait_alu 0xfffe
	s_add_co_ci_u32 s2, s37, s27
	s_mul_i32 s34, s29, s35
	s_add_co_ci_u32 s35, s38, 0
	s_wait_alu 0xfffe
	s_add_nc_u64 s[34:35], s[2:3], s[34:35]
	s_wait_alu 0xfffe
	v_add_co_u32 v4, s2, s28, s34
	s_delay_alu instid0(VALU_DEP_1) | instskip(SKIP_1) | instid1(VALU_DEP_1)
	s_cmp_lg_u32 s2, 0
	s_add_co_ci_u32 s29, s29, s35
	v_readfirstlane_b32 s28, v4
	s_wait_alu 0xfffe
	s_delay_alu instid0(VALU_DEP_1)
	s_mul_u64 s[30:31], s[30:31], s[28:29]
	s_wait_alu 0xfffe
	s_mul_hi_u32 s35, s28, s31
	s_mul_i32 s34, s28, s31
	s_mul_hi_u32 s2, s28, s30
	s_mul_i32 s33, s29, s30
	s_wait_alu 0xfffe
	s_add_nc_u64 s[34:35], s[2:3], s[34:35]
	s_mul_hi_u32 s27, s29, s30
	s_mul_hi_u32 s28, s29, s31
	s_wait_alu 0xfffe
	s_add_co_u32 s2, s34, s33
	s_add_co_ci_u32 s2, s35, s27
	s_mul_i32 s30, s29, s31
	s_add_co_ci_u32 s31, s28, 0
	s_wait_alu 0xfffe
	s_add_nc_u64 s[30:31], s[2:3], s[30:31]
	s_wait_alu 0xfffe
	v_add_co_u32 v4, s2, v4, s30
	s_delay_alu instid0(VALU_DEP_1) | instskip(SKIP_1) | instid1(VALU_DEP_1)
	s_cmp_lg_u32 s2, 0
	s_add_co_ci_u32 s2, s29, s31
	v_mul_hi_u32 v13, v5, v4
	s_wait_alu 0xfffe
	v_mad_co_u64_u32 v[7:8], null, v5, s2, 0
	v_mad_co_u64_u32 v[9:10], null, v6, v4, 0
	;; [unrolled: 1-line block ×3, first 2 shown]
	s_delay_alu instid0(VALU_DEP_3) | instskip(SKIP_1) | instid1(VALU_DEP_4)
	v_add_co_u32 v4, vcc_lo, v13, v7
	s_wait_alu 0xfffd
	v_add_co_ci_u32_e32 v7, vcc_lo, 0, v8, vcc_lo
	s_delay_alu instid0(VALU_DEP_2) | instskip(SKIP_1) | instid1(VALU_DEP_2)
	v_add_co_u32 v4, vcc_lo, v4, v9
	s_wait_alu 0xfffd
	v_add_co_ci_u32_e32 v4, vcc_lo, v7, v10, vcc_lo
	s_wait_alu 0xfffd
	v_add_co_ci_u32_e32 v7, vcc_lo, 0, v12, vcc_lo
	s_delay_alu instid0(VALU_DEP_2) | instskip(SKIP_1) | instid1(VALU_DEP_2)
	v_add_co_u32 v4, vcc_lo, v4, v11
	s_wait_alu 0xfffd
	v_add_co_ci_u32_e32 v9, vcc_lo, 0, v7, vcc_lo
	s_delay_alu instid0(VALU_DEP_2) | instskip(SKIP_1) | instid1(VALU_DEP_3)
	v_mul_lo_u32 v10, s25, v4
	v_mad_co_u64_u32 v[7:8], null, s24, v4, 0
	v_mul_lo_u32 v11, s24, v9
	s_delay_alu instid0(VALU_DEP_2) | instskip(NEXT) | instid1(VALU_DEP_2)
	v_sub_co_u32 v7, vcc_lo, v5, v7
	v_add3_u32 v8, v8, v11, v10
	s_delay_alu instid0(VALU_DEP_1) | instskip(SKIP_1) | instid1(VALU_DEP_1)
	v_sub_nc_u32_e32 v10, v6, v8
	s_wait_alu 0xfffd
	v_subrev_co_ci_u32_e64 v10, s2, s25, v10, vcc_lo
	v_add_co_u32 v11, s2, v4, 2
	s_wait_alu 0xf1ff
	v_add_co_ci_u32_e64 v12, s2, 0, v9, s2
	v_sub_co_u32 v13, s2, v7, s24
	v_sub_co_ci_u32_e32 v8, vcc_lo, v6, v8, vcc_lo
	s_wait_alu 0xf1ff
	v_subrev_co_ci_u32_e64 v10, s2, 0, v10, s2
	s_delay_alu instid0(VALU_DEP_3) | instskip(NEXT) | instid1(VALU_DEP_3)
	v_cmp_le_u32_e32 vcc_lo, s24, v13
	v_cmp_eq_u32_e64 s2, s25, v8
	s_wait_alu 0xfffd
	v_cndmask_b32_e64 v13, 0, -1, vcc_lo
	v_cmp_le_u32_e32 vcc_lo, s25, v10
	s_wait_alu 0xfffd
	v_cndmask_b32_e64 v14, 0, -1, vcc_lo
	v_cmp_le_u32_e32 vcc_lo, s24, v7
	;; [unrolled: 3-line block ×3, first 2 shown]
	s_wait_alu 0xfffd
	v_cndmask_b32_e64 v15, 0, -1, vcc_lo
	v_cmp_eq_u32_e32 vcc_lo, s25, v10
	s_wait_alu 0xf1ff
	s_delay_alu instid0(VALU_DEP_2)
	v_cndmask_b32_e64 v7, v15, v7, s2
	s_wait_alu 0xfffd
	v_cndmask_b32_e32 v10, v14, v13, vcc_lo
	v_add_co_u32 v13, vcc_lo, v4, 1
	s_wait_alu 0xfffd
	v_add_co_ci_u32_e32 v14, vcc_lo, 0, v9, vcc_lo
	s_delay_alu instid0(VALU_DEP_3) | instskip(SKIP_2) | instid1(VALU_DEP_3)
	v_cmp_ne_u32_e32 vcc_lo, 0, v10
	s_wait_alu 0xfffd
	v_cndmask_b32_e32 v10, v13, v11, vcc_lo
	v_cndmask_b32_e32 v8, v14, v12, vcc_lo
	v_cmp_ne_u32_e32 vcc_lo, 0, v7
	s_wait_alu 0xfffd
	s_delay_alu instid0(VALU_DEP_2)
	v_dual_cndmask_b32 v7, v4, v10 :: v_dual_cndmask_b32 v8, v9, v8
.LBB0_4:                                ;   in Loop: Header=BB0_2 Depth=1
	s_wait_alu 0xfffe
	s_and_not1_saveexec_b32 s2, s26
	s_cbranch_execz .LBB0_6
; %bb.5:                                ;   in Loop: Header=BB0_2 Depth=1
	v_cvt_f32_u32_e32 v4, s24
	s_sub_co_i32 s26, 0, s24
	s_delay_alu instid0(VALU_DEP_1) | instskip(NEXT) | instid1(TRANS32_DEP_1)
	v_rcp_iflag_f32_e32 v4, v4
	v_mul_f32_e32 v4, 0x4f7ffffe, v4
	s_delay_alu instid0(VALU_DEP_1) | instskip(SKIP_1) | instid1(VALU_DEP_1)
	v_cvt_u32_f32_e32 v4, v4
	s_wait_alu 0xfffe
	v_mul_lo_u32 v7, s26, v4
	s_delay_alu instid0(VALU_DEP_1) | instskip(NEXT) | instid1(VALU_DEP_1)
	v_mul_hi_u32 v7, v4, v7
	v_add_nc_u32_e32 v4, v4, v7
	s_delay_alu instid0(VALU_DEP_1) | instskip(NEXT) | instid1(VALU_DEP_1)
	v_mul_hi_u32 v4, v5, v4
	v_mul_lo_u32 v7, v4, s24
	v_add_nc_u32_e32 v8, 1, v4
	s_delay_alu instid0(VALU_DEP_2) | instskip(NEXT) | instid1(VALU_DEP_1)
	v_sub_nc_u32_e32 v7, v5, v7
	v_subrev_nc_u32_e32 v9, s24, v7
	v_cmp_le_u32_e32 vcc_lo, s24, v7
	s_wait_alu 0xfffd
	s_delay_alu instid0(VALU_DEP_2) | instskip(NEXT) | instid1(VALU_DEP_1)
	v_dual_cndmask_b32 v7, v7, v9 :: v_dual_cndmask_b32 v4, v4, v8
	v_cmp_le_u32_e32 vcc_lo, s24, v7
	s_delay_alu instid0(VALU_DEP_2) | instskip(SKIP_1) | instid1(VALU_DEP_1)
	v_add_nc_u32_e32 v8, 1, v4
	s_wait_alu 0xfffd
	v_dual_cndmask_b32 v7, v4, v8 :: v_dual_mov_b32 v8, v3
.LBB0_6:                                ;   in Loop: Header=BB0_2 Depth=1
	s_wait_alu 0xfffe
	s_or_b32 exec_lo, exec_lo, s2
	s_delay_alu instid0(VALU_DEP_1) | instskip(NEXT) | instid1(VALU_DEP_2)
	v_mul_lo_u32 v4, v8, s24
	v_mul_lo_u32 v11, v7, s25
	s_load_b64 s[26:27], s[18:19], 0x0
	v_mad_co_u64_u32 v[9:10], null, v7, s24, 0
	s_load_b64 s[24:25], s[16:17], 0x0
	s_add_nc_u64 s[20:21], s[20:21], 1
	s_add_nc_u64 s[16:17], s[16:17], 8
	s_wait_alu 0xfffe
	v_cmp_ge_u64_e64 s2, s[20:21], s[10:11]
	s_add_nc_u64 s[18:19], s[18:19], 8
	s_add_nc_u64 s[22:23], s[22:23], 8
	v_add3_u32 v4, v10, v11, v4
	v_sub_co_u32 v5, vcc_lo, v5, v9
	s_wait_alu 0xfffd
	s_delay_alu instid0(VALU_DEP_2) | instskip(SKIP_2) | instid1(VALU_DEP_1)
	v_sub_co_ci_u32_e32 v4, vcc_lo, v6, v4, vcc_lo
	s_and_b32 vcc_lo, exec_lo, s2
	s_wait_kmcnt 0x0
	v_mul_lo_u32 v6, s26, v4
	v_mul_lo_u32 v9, s27, v5
	v_mad_co_u64_u32 v[20:21], null, s26, v5, v[20:21]
	v_mul_lo_u32 v4, s24, v4
	v_mul_lo_u32 v10, s25, v5
	v_mad_co_u64_u32 v[1:2], null, s24, v5, v[1:2]
	s_delay_alu instid0(VALU_DEP_4) | instskip(NEXT) | instid1(VALU_DEP_2)
	v_add3_u32 v21, v9, v21, v6
	v_add3_u32 v2, v10, v2, v4
	s_wait_alu 0xfffe
	s_cbranch_vccnz .LBB0_9
; %bb.7:                                ;   in Loop: Header=BB0_2 Depth=1
	v_dual_mov_b32 v5, v7 :: v_dual_mov_b32 v6, v8
	s_branch .LBB0_2
.LBB0_8:
	v_dual_mov_b32 v1, v20 :: v_dual_mov_b32 v2, v21
	v_dual_mov_b32 v8, v6 :: v_dual_mov_b32 v7, v5
.LBB0_9:
	s_load_b64 s[0:1], s[0:1], 0x28
	v_mul_hi_u32 v4, 0x4104105, v0
	s_lshl_b64 s[10:11], s[10:11], 3
                                        ; implicit-def: $vgpr3
                                        ; implicit-def: $vgpr5
                                        ; implicit-def: $vgpr19
                                        ; implicit-def: $vgpr18
                                        ; implicit-def: $vgpr17
                                        ; implicit-def: $vgpr16
                                        ; implicit-def: $vgpr15
                                        ; implicit-def: $vgpr12
                                        ; implicit-def: $vgpr14
                                        ; implicit-def: $vgpr11
                                        ; implicit-def: $vgpr10
                                        ; implicit-def: $vgpr9
	s_wait_kmcnt 0x0
	v_cmp_gt_u64_e32 vcc_lo, s[0:1], v[7:8]
	v_cmp_le_u64_e64 s0, s[0:1], v[7:8]
	s_delay_alu instid0(VALU_DEP_1)
	s_and_saveexec_b32 s1, s0
	s_wait_alu 0xfffe
	s_xor_b32 s0, exec_lo, s1
	s_cbranch_execz .LBB0_11
; %bb.10:
	v_mul_u32_u24_e32 v3, 63, v4
                                        ; implicit-def: $vgpr4
                                        ; implicit-def: $vgpr20_vgpr21
	s_delay_alu instid0(VALU_DEP_1) | instskip(NEXT) | instid1(VALU_DEP_1)
	v_sub_nc_u32_e32 v3, v0, v3
                                        ; implicit-def: $vgpr0
	v_add_nc_u32_e32 v5, 63, v3
	v_add_nc_u32_e32 v19, 0x7e, v3
	;; [unrolled: 1-line block ×11, first 2 shown]
.LBB0_11:
	s_wait_alu 0xfffe
	s_or_saveexec_b32 s1, s0
	s_add_nc_u64 s[2:3], s[14:15], s[10:11]
	s_wait_alu 0xfffe
	s_xor_b32 exec_lo, exec_lo, s1
	s_cbranch_execz .LBB0_13
; %bb.12:
	s_add_nc_u64 s[10:11], s[12:13], s[10:11]
	s_load_b64 s[10:11], s[10:11], 0x0
	s_wait_kmcnt 0x0
	v_mul_lo_u32 v3, s11, v7
	v_mul_lo_u32 v9, s10, v8
	v_mad_co_u64_u32 v[5:6], null, s10, v7, 0
	s_delay_alu instid0(VALU_DEP_1) | instskip(SKIP_2) | instid1(VALU_DEP_3)
	v_add3_u32 v6, v6, v9, v3
	v_mul_u32_u24_e32 v3, 63, v4
	v_lshlrev_b64_e32 v[9:10], 2, v[20:21]
	v_lshlrev_b64_e32 v[4:5], 2, v[5:6]
	s_delay_alu instid0(VALU_DEP_3) | instskip(NEXT) | instid1(VALU_DEP_1)
	v_sub_nc_u32_e32 v3, v0, v3
	v_lshlrev_b32_e32 v6, 2, v3
	s_delay_alu instid0(VALU_DEP_3) | instskip(SKIP_1) | instid1(VALU_DEP_4)
	v_add_co_u32 v0, s0, s4, v4
	s_wait_alu 0xf1ff
	v_add_co_ci_u32_e64 v4, s0, s5, v5, s0
	v_add_nc_u32_e32 v19, 0x7e, v3
	s_delay_alu instid0(VALU_DEP_3) | instskip(SKIP_1) | instid1(VALU_DEP_3)
	v_add_co_u32 v0, s0, v0, v9
	s_wait_alu 0xf1ff
	v_add_co_ci_u32_e64 v5, s0, v4, v10, s0
	v_add_nc_u32_e32 v18, 0xbd, v3
	s_delay_alu instid0(VALU_DEP_3) | instskip(SKIP_1) | instid1(VALU_DEP_3)
	v_add_co_u32 v4, s0, v0, v6
	s_wait_alu 0xf1ff
	v_add_co_ci_u32_e64 v5, s0, 0, v5, s0
	s_clause 0x17
	global_load_b32 v0, v[4:5], off
	global_load_b32 v13, v[4:5], off offset:252
	global_load_b32 v20, v[4:5], off offset:504
	;; [unrolled: 1-line block ×23, first 2 shown]
	v_add_nc_u32_e32 v6, 0, v6
	v_add_nc_u32_e32 v5, 63, v3
	;; [unrolled: 1-line block ×20, first 2 shown]
	s_wait_loadcnt 0x16
	ds_store_2addr_b32 v6, v0, v13 offset1:63
	s_wait_loadcnt 0x14
	ds_store_2addr_b32 v6, v20, v21 offset0:126 offset1:189
	s_wait_loadcnt 0x12
	ds_store_2addr_b32 v41, v22, v23 offset0:124 offset1:187
	;; [unrolled: 2-line block ×11, first 2 shown]
.LBB0_13:
	s_or_b32 exec_lo, exec_lo, s1
	v_lshlrev_b32_e32 v4, 2, v3
	s_load_b64 s[2:3], s[2:3], 0x0
	global_wb scope:SCOPE_SE
	s_wait_dscnt 0x0
	s_wait_kmcnt 0x0
	s_barrier_signal -1
	s_barrier_wait -1
	v_add_nc_u32_e32 v13, 0, v4
	global_inv scope:SCOPE_SE
	v_lshl_add_u32 v6, v5, 3, 0
	v_lshl_add_u32 v61, v19, 3, 0
	;; [unrolled: 1-line block ×3, first 2 shown]
	v_add_nc_u32_e32 v41, 0x800, v13
	v_add_nc_u32_e32 v62, 0x600, v13
	;; [unrolled: 1-line block ×9, first 2 shown]
	ds_load_2addr_b32 v[22:23], v41 offset0:118 offset1:181
	ds_load_2addr_b32 v[24:25], v40 offset0:106 offset1:169
	v_add_nc_u32_e32 v66, 0xe00, v13
	ds_load_2addr_b32 v[26:27], v62 offset0:120 offset1:183
	ds_load_2addr_b32 v[28:29], v21 offset0:108 offset1:171
	ds_load_2addr_b32 v[30:31], v64 offset0:122 offset1:185
	ds_load_2addr_b32 v[32:33], v65 offset0:110 offset1:173
	ds_load_2addr_b32 v[34:35], v0 offset0:124 offset1:187
	ds_load_2addr_b32 v[36:37], v66 offset0:112 offset1:175
	ds_load_2addr_b32 v[38:39], v13 offset0:126 offset1:189
	ds_load_2addr_b32 v[43:44], v42 offset0:114 offset1:177
	ds_load_2addr_b32 v[53:54], v13 offset1:63
	ds_load_2addr_b32 v[55:56], v67 offset0:116 offset1:179
	v_add_nc_u32_e32 v20, v13, v4
	v_lshl_add_u32 v52, v17, 3, 0
	v_lshl_add_u32 v51, v16, 3, 0
	;; [unrolled: 1-line block ×8, first 2 shown]
	global_wb scope:SCOPE_SE
	s_wait_dscnt 0x0
	s_barrier_signal -1
	s_barrier_wait -1
	global_inv scope:SCOPE_SE
	v_pk_add_f16 v29, v27, v29 neg_lo:[0,1] neg_hi:[0,1]
	v_pk_add_f16 v28, v26, v28 neg_lo:[0,1] neg_hi:[0,1]
	v_pk_add_f16 v25, v23, v25 neg_lo:[0,1] neg_hi:[0,1]
	v_pk_add_f16 v24, v22, v24 neg_lo:[0,1] neg_hi:[0,1]
	v_pk_add_f16 v37, v35, v37 neg_lo:[0,1] neg_hi:[0,1]
	v_pk_add_f16 v43, v38, v43 neg_lo:[0,1] neg_hi:[0,1]
	v_pk_add_f16 v55, v53, v55 neg_lo:[0,1] neg_hi:[0,1]
	v_pk_add_f16 v45, v54, v56 neg_lo:[0,1] neg_hi:[0,1]
	v_pk_add_f16 v44, v39, v44 neg_lo:[0,1] neg_hi:[0,1]
	v_pk_add_f16 v36, v34, v36 neg_lo:[0,1] neg_hi:[0,1]
	v_pk_add_f16 v33, v31, v33 neg_lo:[0,1] neg_hi:[0,1]
	v_pk_add_f16 v32, v30, v32 neg_lo:[0,1] neg_hi:[0,1]
	v_pk_fma_f16 v53, v53, 2.0, v55 op_sel_hi:[1,0,1] neg_lo:[0,0,1] neg_hi:[0,0,1]
	v_pk_fma_f16 v54, v54, 2.0, v45 op_sel_hi:[1,0,1] neg_lo:[0,0,1] neg_hi:[0,0,1]
	;; [unrolled: 1-line block ×12, first 2 shown]
	ds_store_2addr_b32 v20, v53, v55 offset1:1
	ds_store_2addr_b32 v6, v54, v45 offset1:1
	;; [unrolled: 1-line block ×12, first 2 shown]
	v_and_b32_e32 v35, 1, v9
	v_and_b32_e32 v37, 1, v11
	v_and_b32_e32 v38, 1, v12
	v_and_b32_e32 v77, 1, v18
	v_and_b32_e32 v31, 1, v3
	v_and_b32_e32 v75, 1, v16
	v_lshlrev_b32_e32 v20, 2, v35
	v_and_b32_e32 v82, 1, v5
	v_lshlrev_b32_e32 v22, 2, v37
	v_lshlrev_b32_e32 v23, 2, v38
	;; [unrolled: 1-line block ×5, first 2 shown]
	global_wb scope:SCOPE_SE
	s_wait_dscnt 0x0
	s_barrier_signal -1
	s_barrier_wait -1
	global_inv scope:SCOPE_SE
	s_clause 0x5
	global_load_b32 v27, v20, s[8:9]
	global_load_b32 v26, v22, s[8:9]
	;; [unrolled: 1-line block ×6, first 2 shown]
	v_lshlrev_b32_e32 v6, 2, v82
	v_lshlrev_b32_e32 v20, 1, v3
	;; [unrolled: 1-line block ×5, first 2 shown]
	global_load_b32 v79, v6, s[8:9]
	v_and_or_b32 v92, 0x7c, v20, v31
	v_and_or_b32 v93, 0x1fc, v24, v31
	;; [unrolled: 1-line block ×4, first 2 shown]
	ds_load_2addr_b32 v[37:38], v40 offset0:106 offset1:169
	ds_load_2addr_b32 v[84:85], v21 offset0:108 offset1:171
	;; [unrolled: 1-line block ×5, first 2 shown]
	v_lshl_add_u32 v119, v92, 2, 0
	v_lshl_add_u32 v120, v93, 2, 0
	ds_load_2addr_b32 v[92:93], v67 offset0:116 offset1:179
	v_lshlrev_b32_e32 v57, 2, v14
	v_lshlrev_b32_e32 v58, 2, v11
	;; [unrolled: 1-line block ×10, first 2 shown]
	v_sub_nc_u32_e32 v73, v48, v57
	v_lshl_add_u32 v53, v5, 2, 0
	v_sub_nc_u32_e32 v101, v49, v58
	v_sub_nc_u32_e32 v70, v61, v68
	;; [unrolled: 1-line block ×9, first 2 shown]
	v_lshlrev_b32_e32 v22, 1, v5
	v_lshlrev_b32_e32 v28, 1, v18
	;; [unrolled: 1-line block ×8, first 2 shown]
	v_and_b32_e32 v81, 3, v9
	v_and_b32_e32 v80, 3, v10
	v_and_or_b32 v82, 0xfc, v22, v82
	v_and_b32_e32 v99, 3, v11
	v_and_b32_e32 v83, 3, v12
	v_and_or_b32 v77, 0x1fc, v28, v77
	v_and_b32_e32 v94, 3, v15
	v_and_or_b32 v104, 0x3fc, v29, v31
	v_and_or_b32 v75, 0x2fc, v32, v75
	;; [unrolled: 1-line block ×3, first 2 shown]
	v_and_b32_e32 v95, 3, v18
	v_and_b32_e32 v96, 3, v19
	;; [unrolled: 1-line block ×5, first 2 shown]
	v_and_or_b32 v105, 0x3fc, v33, v31
	v_and_or_b32 v107, 0x7fc, v36, v31
	;; [unrolled: 1-line block ×3, first 2 shown]
	v_lshlrev_b32_e32 v110, 2, v81
	v_lshlrev_b32_e32 v109, 2, v80
	v_lshl_add_u32 v82, v82, 2, 0
	v_lshlrev_b32_e32 v117, 2, v99
	v_lshlrev_b32_e32 v111, 2, v83
	v_lshl_add_u32 v77, v77, 2, 0
	v_lshlrev_b32_e32 v112, 2, v94
	v_lshl_add_u32 v104, v104, 2, 0
	v_lshl_add_u32 v75, v75, 2, 0
	;; [unrolled: 1-line block ×3, first 2 shown]
	v_lshlrev_b32_e32 v113, 2, v95
	v_lshlrev_b32_e32 v114, 2, v96
	;; [unrolled: 1-line block ×5, first 2 shown]
	v_lshl_add_u32 v105, v105, 2, 0
	v_lshl_add_u32 v106, v106, 2, 0
	;; [unrolled: 1-line block ×5, first 2 shown]
	v_and_or_b32 v22, 0xf8, v22, v97
	v_and_or_b32 v24, 0x1f8, v24, v96
	;; [unrolled: 1-line block ×3, first 2 shown]
	v_cmp_gt_u32_e64 s0, 9, v3
	v_sub_nc_u32_e32 v68, 0, v68
	s_wait_loadcnt_dscnt 0x605
	v_pk_mul_f16 v121, v38, v27 op_sel:[0,1]
	s_wait_loadcnt_dscnt 0x504
	v_pk_mul_f16 v122, v85, v26 op_sel:[0,1]
	;; [unrolled: 2-line block ×5, first 2 shown]
	s_wait_loadcnt 0x1
	v_pk_mul_f16 v126, v76, v88 op_sel:[0,1]
	v_pk_mul_f16 v127, v37, v76 op_sel:[0,1]
	;; [unrolled: 1-line block ×4, first 2 shown]
	v_pk_fma_f16 v130, v89, v30, v124 op_sel:[0,0,1] op_sel_hi:[1,1,0] neg_lo:[0,0,1] neg_hi:[0,0,1]
	v_pk_fma_f16 v30, v89, v30, v124 op_sel:[0,0,1] op_sel_hi:[1,0,0]
	v_pk_fma_f16 v89, v76, v88, v126 op_sel:[0,0,1] op_sel_hi:[1,1,0] neg_lo:[0,0,1] neg_hi:[0,0,1]
	v_pk_fma_f16 v88, v76, v88, v126 op_sel:[0,0,1] op_sel_hi:[1,0,0]
	s_wait_dscnt 0x0
	v_pk_mul_f16 v124, v76, v92 op_sel:[0,1]
	v_pk_fma_f16 v126, v38, v27, v121 op_sel:[0,0,1] op_sel_hi:[1,1,0] neg_lo:[0,0,1] neg_hi:[0,0,1]
	v_pk_fma_f16 v27, v38, v27, v121 op_sel:[0,0,1] op_sel_hi:[1,0,0]
	v_pk_fma_f16 v38, v37, v76, v127 op_sel:[0,0,1] op_sel_hi:[1,1,0] neg_lo:[0,0,1] neg_hi:[0,0,1]
	v_pk_fma_f16 v37, v37, v76, v127 op_sel:[0,0,1] op_sel_hi:[1,0,0]
	v_pk_mul_f16 v121, v90, v76 op_sel:[0,1]
	v_pk_fma_f16 v127, v85, v26, v122 op_sel:[0,0,1] op_sel_hi:[1,1,0] neg_lo:[0,0,1] neg_hi:[0,0,1]
	v_pk_fma_f16 v26, v85, v26, v122 op_sel:[0,0,1] op_sel_hi:[1,0,0]
	s_wait_loadcnt 0x0
	v_pk_mul_f16 v122, v79, v93 op_sel:[0,1]
	v_pk_fma_f16 v85, v84, v76, v128 op_sel:[0,0,1] op_sel_hi:[1,1,0] neg_lo:[0,0,1] neg_hi:[0,0,1]
	v_pk_fma_f16 v84, v84, v76, v128 op_sel:[0,0,1] op_sel_hi:[1,0,0]
	v_pk_fma_f16 v128, v87, v25, v123 op_sel:[0,0,1] op_sel_hi:[1,1,0] neg_lo:[0,0,1] neg_hi:[0,0,1]
	v_pk_fma_f16 v25, v87, v25, v123 op_sel:[0,0,1] op_sel_hi:[1,0,0]
	;; [unrolled: 2-line block ×7, first 2 shown]
	v_bfi_b32 v90, 0xffff, v123, v92
	v_bfi_b32 v79, 0xffff, v124, v79
	v_bfi_b32 v88, 0xffff, v89, v88
	ds_load_b32 v89, v13
	ds_load_b32 v92, v53
	;; [unrolled: 1-line block ×8, first 2 shown]
	v_bfi_b32 v30, 0xffff, v130, v30
	v_bfi_b32 v76, 0xffff, v91, v76
	;; [unrolled: 1-line block ×4, first 2 shown]
	ds_load_b32 v87, v73
	ds_load_b32 v91, v101
	;; [unrolled: 1-line block ×4, first 2 shown]
	v_bfi_b32 v84, 0xffff, v85, v84
	v_bfi_b32 v25, 0xffff, v128, v25
	;; [unrolled: 1-line block ×5, first 2 shown]
	global_wb scope:SCOPE_SE
	s_wait_dscnt 0x0
	s_barrier_signal -1
	v_pk_add_f16 v38, v89, v90 neg_lo:[0,1] neg_hi:[0,1]
	v_pk_add_f16 v79, v92, v79 neg_lo:[0,1] neg_hi:[0,1]
	;; [unrolled: 1-line block ×8, first 2 shown]
	v_pk_fma_f16 v88, v89, 2.0, v38 op_sel_hi:[1,0,1] neg_lo:[0,0,1] neg_hi:[0,0,1]
	v_pk_add_f16 v84, v87, v84 neg_lo:[0,1] neg_hi:[0,1]
	v_pk_add_f16 v26, v91, v26 neg_lo:[0,1] neg_hi:[0,1]
	;; [unrolled: 1-line block ×4, first 2 shown]
	v_pk_fma_f16 v89, v92, 2.0, v79 op_sel_hi:[1,0,1] neg_lo:[0,0,1] neg_hi:[0,0,1]
	v_pk_fma_f16 v90, v121, 2.0, v85 op_sel_hi:[1,0,1] neg_lo:[0,0,1] neg_hi:[0,0,1]
	;; [unrolled: 1-line block ×5, first 2 shown]
	s_barrier_wait -1
	global_inv scope:SCOPE_SE
	v_pk_fma_f16 v122, v124, 2.0, v23 op_sel_hi:[1,0,1] neg_lo:[0,0,1] neg_hi:[0,0,1]
	v_pk_fma_f16 v123, v125, 2.0, v86 op_sel_hi:[1,0,1] neg_lo:[0,0,1] neg_hi:[0,0,1]
	v_pk_fma_f16 v124, v129, 2.0, v25 op_sel_hi:[1,0,1] neg_lo:[0,0,1] neg_hi:[0,0,1]
	v_pk_fma_f16 v91, v91, 2.0, v26 op_sel_hi:[1,0,1] neg_lo:[0,0,1] neg_hi:[0,0,1]
	v_pk_fma_f16 v93, v93, 2.0, v37 op_sel_hi:[1,0,1] neg_lo:[0,0,1] neg_hi:[0,0,1]
	v_pk_fma_f16 v125, v130, 2.0, v27 op_sel_hi:[1,0,1] neg_lo:[0,0,1] neg_hi:[0,0,1]
	ds_store_2addr_b32 v119, v88, v38 offset1:2
	ds_store_2addr_b32 v82, v89, v79 offset1:2
	;; [unrolled: 1-line block ×12, first 2 shown]
	global_wb scope:SCOPE_SE
	s_wait_dscnt 0x0
	s_barrier_signal -1
	s_barrier_wait -1
	global_inv scope:SCOPE_SE
	s_clause 0x9
	global_load_b32 v35, v110, s[8:9] offset:8
	global_load_b32 v75, v109, s[8:9] offset:8
	;; [unrolled: 1-line block ×10, first 2 shown]
	v_and_or_b32 v23, 0x78, v20, v98
	v_and_or_b32 v25, 0x1f8, v28, v95
	;; [unrolled: 1-line block ×9, first 2 shown]
	v_lshl_add_u32 v36, v23, 2, 0
	v_lshl_add_u32 v39, v22, 2, 0
	;; [unrolled: 1-line block ×12, first 2 shown]
	ds_load_2addr_b32 v[22:23], v40 offset0:106 offset1:169
	ds_load_2addr_b32 v[24:25], v65 offset0:110 offset1:173
	ds_load_2addr_b32 v[26:27], v42 offset0:114 offset1:177
	ds_load_2addr_b32 v[28:29], v67 offset0:116 offset1:179
	ds_load_2addr_b32 v[30:31], v21 offset0:108 offset1:171
	ds_load_2addr_b32 v[32:33], v66 offset0:112 offset1:175
	ds_load_b32 v21, v103
	ds_load_b32 v93, v102
	;; [unrolled: 1-line block ×12, first 2 shown]
	v_and_b32_e32 v37, 7, v5
	v_and_b32_e32 v38, 7, v19
	global_wb scope:SCOPE_SE
	s_wait_loadcnt_dscnt 0x0
	s_barrier_signal -1
	s_barrier_wait -1
	v_lshlrev_b32_e32 v34, 3, v37
	global_inv scope:SCOPE_SE
	v_pk_mul_f16 v104, v23, v35 op_sel:[0,1]
	v_pk_mul_f16 v105, v22, v75 op_sel:[0,1]
	;; [unrolled: 1-line block ×12, first 2 shown]
	v_pk_fma_f16 v116, v23, v35, v104 op_sel:[0,0,1] op_sel_hi:[1,1,0] neg_lo:[0,0,1] neg_hi:[0,0,1]
	v_pk_fma_f16 v23, v23, v35, v104 op_sel:[0,0,1] op_sel_hi:[1,0,0]
	v_pk_fma_f16 v35, v22, v75, v105 op_sel:[0,0,1] op_sel_hi:[1,1,0] neg_lo:[0,0,1] neg_hi:[0,0,1]
	v_pk_fma_f16 v22, v22, v75, v105 op_sel:[0,0,1] op_sel_hi:[1,0,0]
	;; [unrolled: 2-line block ×12, first 2 shown]
	v_bfi_b32 v28, 0xffff, v86, v28
	v_bfi_b32 v29, 0xffff, v85, v29
	;; [unrolled: 1-line block ×12, first 2 shown]
	v_pk_add_f16 v28, v94, v28 neg_lo:[0,1] neg_hi:[0,1]
	v_pk_add_f16 v29, v95, v29 neg_lo:[0,1] neg_hi:[0,1]
	;; [unrolled: 1-line block ×12, first 2 shown]
	v_pk_fma_f16 v35, v94, 2.0, v28 op_sel_hi:[1,0,1] neg_lo:[0,0,1] neg_hi:[0,0,1]
	v_pk_fma_f16 v75, v95, 2.0, v29 op_sel_hi:[1,0,1] neg_lo:[0,0,1] neg_hi:[0,0,1]
	;; [unrolled: 1-line block ×12, first 2 shown]
	ds_store_2addr_b32 v36, v35, v28 offset1:4
	ds_store_2addr_b32 v39, v75, v29 offset1:4
	;; [unrolled: 1-line block ×12, first 2 shown]
	global_wb scope:SCOPE_SE
	s_wait_dscnt 0x0
	s_barrier_signal -1
	s_barrier_wait -1
	global_inv scope:SCOPE_SE
	global_load_b64 v[25:26], v34, s[8:9] offset:24
	v_lshlrev_b32_e32 v21, 3, v38
	v_and_b32_e32 v39, 7, v18
	v_and_b32_e32 v78, 7, v16
	;; [unrolled: 1-line block ×4, first 2 shown]
	global_load_b64 v[21:22], v21, s[8:9] offset:24
	v_lshlrev_b32_e32 v23, 3, v39
	v_lshlrev_b32_e32 v29, 3, v78
	v_and_b32_e32 v74, 7, v3
	v_and_b32_e32 v83, 7, v12
	v_lshrrev_b32_e32 v76, 3, v5
	s_clause 0x1
	global_load_b64 v[27:28], v23, s[8:9] offset:24
	global_load_b64 v[31:32], v29, s[8:9] offset:24
	v_lshlrev_b32_e32 v23, 3, v75
	v_lshlrev_b32_e32 v29, 3, v82
	;; [unrolled: 1-line block ×4, first 2 shown]
	v_lshrrev_b32_e32 v77, 3, v3
	s_clause 0x3
	global_load_b64 v[23:24], v23, s[8:9] offset:24
	global_load_b64 v[29:30], v29, s[8:9] offset:24
	;; [unrolled: 1-line block ×4, first 2 shown]
	v_and_b32_e32 v90, 0xff, v5
	v_and_b32_e32 v81, 0xff, v19
	v_lshrrev_b32_e32 v84, 3, v19
	v_lshrrev_b32_e32 v85, 3, v18
	v_mul_lo_u32 v91, v76, 24
	v_mul_u32_u24_e32 v76, 24, v77
	v_mul_lo_u16 v77, 0xab, v90
	v_mul_lo_u16 v90, 0xab, v81
	v_lshrrev_b32_e32 v86, 3, v17
	v_lshrrev_b32_e32 v87, 3, v16
	;; [unrolled: 1-line block ×4, first 2 shown]
	v_mul_lo_u32 v84, v84, 24
	v_mul_lo_u32 v85, v85, 24
	v_or_b32_e32 v93, v76, v74
	v_lshrrev_b16 v74, 12, v77
	v_lshrrev_b16 v76, 12, v90
	v_mul_lo_u32 v86, v86, 24
	v_mul_lo_u32 v87, v87, 24
	v_mul_lo_u32 v88, v88, 24
	v_mul_lo_u32 v89, v89, 24
	v_and_b32_e32 v79, 0xff, v18
	v_or_b32_e32 v37, v91, v37
	v_or_b32_e32 v38, v84, v38
	;; [unrolled: 1-line block ×3, first 2 shown]
	v_mul_lo_u16 v84, v74, 24
	v_mul_lo_u16 v85, v76, 24
	;; [unrolled: 1-line block ×3, first 2 shown]
	v_or_b32_e32 v75, v86, v75
	v_or_b32_e32 v78, v87, v78
	;; [unrolled: 1-line block ×4, first 2 shown]
	v_lshl_add_u32 v96, v37, 2, 0
	v_sub_nc_u16 v37, v5, v84
	v_lshl_add_u32 v97, v38, 2, 0
	v_sub_nc_u16 v38, v19, v85
	v_lshrrev_b16 v77, 12, v92
	v_lshl_add_u32 v95, v93, 2, 0
	v_lshl_add_u32 v98, v75, 2, 0
	v_and_b32_e32 v75, 0xff, v37
	v_lshl_add_u32 v99, v78, 2, 0
	v_lshl_add_u32 v100, v82, 2, 0
	;; [unrolled: 1-line block ×3, first 2 shown]
	v_and_b32_e32 v78, 0xff, v38
	ds_load_2addr_b32 v[37:38], v65 offset0:47 offset1:110
	ds_load_2addr_b32 v[82:83], v41 offset0:55 offset1:118
	;; [unrolled: 1-line block ×7, first 2 shown]
	ds_load_b32 v103, v53
	ds_load_b32 v104, v70
	;; [unrolled: 1-line block ×6, first 2 shown]
	ds_load_b32 v109, v13 offset:5796
	ds_load_b32 v110, v13
	ds_load_b32 v111, v73
	ds_load_b32 v112, v43
	v_and_b32_e32 v80, 0xffff, v17
	v_lshl_add_u32 v39, v39, 2, 0
	v_lshlrev_b32_e32 v102, 3, v75
	s_wait_dscnt 0x10
	v_lshrrev_b32_e32 v116, 16, v38
	s_wait_dscnt 0xf
	v_lshrrev_b32_e32 v115, 16, v82
	v_lshrrev_b32_e32 v113, 16, v37
	v_lshrrev_b32_e32 v114, 16, v83
	s_wait_dscnt 0xe
	v_lshrrev_b32_e32 v117, 16, v84
	s_wait_dscnt 0xd
	v_lshrrev_b32_e32 v118, 16, v86
	v_lshrrev_b32_e32 v119, 16, v85
	v_lshrrev_b32_e32 v120, 16, v87
	;; [unrolled: 6-line block ×3, first 2 shown]
	v_mul_u32_u24_e32 v94, 0xaaab, v80
	global_wb scope:SCOPE_SE
	s_wait_loadcnt_dscnt 0x0
	s_barrier_signal -1
	v_lshrrev_b32_e32 v127, 16, v111
	s_barrier_wait -1
	global_inv scope:SCOPE_SE
	v_and_b32_e32 v74, 0xffff, v74
	v_and_b32_e32 v76, 0xffff, v76
	v_lshlrev_b32_e32 v75, 2, v75
	v_mul_lo_u16 v81, v81, 57
	v_mul_lo_u16 v79, v79, 57
	v_mul_u32_u24_e32 v80, 0xe38f, v80
	v_lshrrev_b32_e32 v123, 16, v25
	v_lshrrev_b32_e32 v125, 16, v26
	s_delay_alu instid0(VALU_DEP_2) | instskip(SKIP_2) | instid1(VALU_DEP_4)
	v_mul_f16_e64 v128, v123, v82
	v_mul_f16_e32 v123, v123, v115
	v_lshrrev_b32_e32 v129, 16, v21
	v_mul_f16_e64 v130, v37, v125
	v_mul_f16_e32 v125, v113, v125
	v_fmac_f16_e64 v128, v25, v115
	v_lshrrev_b32_e32 v115, 16, v22
	v_fma_f16 v25, v25, v82, -v123
	v_fmac_f16_e64 v130, v113, v26
	v_mul_f16_e64 v113, v114, v129
	v_mul_f16_e64 v82, v83, v129
	v_mul_f16_e32 v123, v116, v115
	v_mul_f16_e32 v115, v38, v115
	v_lshrrev_b32_e32 v129, 16, v28
	v_fma_f16 v26, v37, v26, -v125
	v_fmac_f16_e32 v82, v114, v21
	v_fma_f16 v38, v38, v22, -v123
	v_lshrrev_b32_e32 v123, 16, v27
	v_fmac_f16_e32 v115, v116, v22
	v_lshrrev_b32_e32 v114, 16, v23
	v_mul_f16_e64 v116, v86, v129
	v_mul_f16_e64 v129, v118, v129
	v_mul_f16_e32 v22, v84, v123
	v_mul_f16_e32 v123, v117, v123
	v_lshrrev_b32_e32 v37, 16, v93
	v_fmac_f16_e32 v116, v118, v28
	v_mul_f16_e32 v118, v119, v114
	v_fmac_f16_e32 v22, v117, v27
	v_lshrrev_b32_e32 v117, 16, v24
	v_fma_f16 v28, v86, v28, -v129
	v_mul_f16_e32 v86, v85, v114
	v_lshrrev_b32_e32 v129, 16, v32
	v_fma_f16 v83, v83, v21, -v113
	v_mul_f16_e32 v114, v120, v117
	v_mul_f16_e32 v117, v87, v117
	v_fmac_f16_e32 v86, v119, v23
	v_lshrrev_b32_e32 v119, 16, v29
	v_lshrrev_b32_e32 v113, 16, v92
	v_fma_f16 v87, v87, v24, -v114
	v_lshrrev_b32_e32 v114, 16, v31
	v_fmac_f16_e32 v117, v120, v24
	v_mul_f16_e64 v120, v90, v129
	v_mul_f16_e64 v129, v122, v129
	v_lshrrev_b32_e32 v125, 16, v109
	v_mul_f16_e32 v24, v88, v114
	v_mul_f16_e32 v114, v121, v114
	v_fmac_f16_e32 v120, v122, v32
	v_mul_f16_e32 v122, v124, v119
	v_fma_f16 v32, v90, v32, -v129
	v_fmac_f16_e32 v24, v121, v31
	v_lshrrev_b32_e32 v121, 16, v30
	v_fma_f16 v31, v88, v31, -v114
	v_mul_f16_e32 v90, v89, v119
	v_lshrrev_b32_e32 v129, 16, v36
	v_fma_f16 v89, v89, v29, -v122
	v_mul_f16_e32 v114, v126, v121
	v_mul_f16_e32 v121, v91, v121
	v_fmac_f16_e32 v90, v124, v29
	v_lshrrev_b32_e32 v29, 16, v33
	v_lshrrev_b32_e32 v124, 16, v34
	v_fma_f16 v91, v91, v30, -v114
	v_lshrrev_b32_e32 v114, 16, v35
	v_fmac_f16_e32 v121, v126, v30
	v_mul_f16_e64 v126, v129, v93
	v_mul_f16_e64 v129, v129, v37
	v_lshrrev_b32_e32 v21, 16, v110
	v_mul_f16_e32 v30, v114, v127
	v_mul_f16_e32 v114, v114, v111
	v_fmac_f16_e32 v126, v36, v37
	v_fma_f16 v36, v36, v93, -v129
	v_fma_f16 v27, v84, v27, -v123
	;; [unrolled: 1-line block ×3, first 2 shown]
	v_mul_f16_e32 v111, v113, v29
	v_mul_f16_e32 v29, v92, v29
	v_fmac_f16_e32 v114, v35, v127
	v_mul_f16_e32 v35, v125, v124
	v_mul_f16_e32 v124, v109, v124
	v_fma_f16 v37, v92, v33, -v111
	v_fmac_f16_e32 v29, v113, v33
	v_add_f16_e32 v93, v114, v126
	v_fma_f16 v33, v109, v34, -v35
	v_add_f16_e32 v35, v30, v36
	v_lshrrev_b32_e32 v84, 16, v103
	v_fma_f16 v85, v85, v23, -v118
	v_lshrrev_b32_e32 v118, 16, v104
	v_fmac_f16_e32 v124, v125, v34
	v_add_f16_e32 v34, v110, v30
	v_add_f16_e32 v113, v25, v26
	v_add_f16_e64 v125, v128, v130
	v_add_f16_e64 v129, v83, v38
	v_fmac_f16_e32 v110, -0.5, v35
	v_add_f16_e32 v35, v82, v115
	v_add_f16_e32 v92, v21, v114
	v_fmac_f16_e32 v21, -0.5, v93
	v_add_f16_e32 v93, v27, v28
	v_lshrrev_b32_e32 v123, 16, v105
	v_lshrrev_b32_e32 v23, 16, v106
	v_sub_f16_e32 v30, v30, v36
	v_sub_f16_e32 v109, v114, v126
	v_add_f16_e32 v111, v103, v25
	v_add_f16_e64 v114, v84, v128
	v_sub_f16_e64 v127, v128, v130
	v_add_f16_e64 v128, v104, v83
	v_add_f16_e32 v34, v34, v36
	v_add_f16_e32 v36, v118, v82
	v_fmac_f16_e32 v103, -0.5, v113
	v_add_f16_e32 v113, v22, v116
	v_fmac_f16_e32 v84, -0.5, v125
	v_add_f16_e32 v125, v85, v87
	v_fmac_f16_e64 v104, -0.5, v129
	v_add_f16_e64 v129, v86, v117
	v_fmac_f16_e32 v118, -0.5, v35
	v_add_f16_e32 v35, v31, v32
	v_lshrrev_b32_e32 v88, 16, v107
	v_add_f16_e32 v92, v92, v126
	v_add_f16_e32 v126, v105, v27
	v_fmac_f16_e32 v105, -0.5, v93
	v_add_f16_e32 v93, v24, v120
	v_lshrrev_b32_e32 v119, 16, v108
	v_lshrrev_b32_e32 v122, 16, v112
	v_sub_f16_e32 v25, v25, v26
	v_sub_f16_e32 v83, v83, v38
	;; [unrolled: 1-line block ×3, first 2 shown]
	v_add_f16_e32 v26, v111, v26
	v_add_f16_e32 v111, v123, v22
	v_add_f16_e64 v114, v114, v130
	v_add_f16_e64 v130, v106, v85
	;; [unrolled: 1-line block ×4, first 2 shown]
	v_add_f16_e32 v36, v36, v115
	v_add_f16_e32 v115, v107, v31
	v_fmac_f16_e32 v123, -0.5, v113
	v_add_f16_e32 v113, v89, v91
	v_fmac_f16_e32 v106, -0.5, v125
	v_add_f16_e32 v125, v90, v121
	v_fmac_f16_e64 v23, -0.5, v129
	v_add_f16_e64 v129, v37, v33
	v_fmac_f16_e32 v107, -0.5, v35
	v_add_f16_e32 v35, v29, v124
	v_sub_f16_e32 v27, v27, v28
	v_sub_f16_e32 v22, v22, v116
	;; [unrolled: 1-line block ×5, first 2 shown]
	v_add_f16_e32 v28, v126, v28
	v_add_f16_e32 v126, v88, v24
	v_sub_f16_e32 v24, v24, v120
	v_fmac_f16_e32 v88, -0.5, v93
	v_add_f16_e32 v111, v111, v116
	v_add_f16_e32 v116, v108, v89
	v_sub_f16_e32 v89, v89, v91
	v_add_f16_e64 v87, v130, v87
	v_add_f16_e64 v130, v119, v90
	v_sub_f16_e32 v90, v90, v121
	v_add_f16_e64 v117, v128, v117
	v_add_f16_e64 v128, v112, v37
	v_sub_f16_e32 v37, v37, v33
	v_add_f16_e32 v32, v115, v32
	v_add_f16_e32 v115, v122, v29
	v_sub_f16_e32 v29, v29, v124
	v_fmac_f16_e32 v108, -0.5, v113
	v_fmac_f16_e32 v119, -0.5, v125
	v_fmac_f16_e64 v112, -0.5, v129
	v_fmac_f16_e32 v122, -0.5, v35
	v_pack_b32_f16 v34, v34, v92
	v_fmamk_f16 v35, v109, 0x3aee, v110
	v_fmamk_f16 v92, v30, 0xbaee, v21
	v_fmac_f16_e32 v110, 0xbaee, v109
	v_fmac_f16_e32 v21, 0x3aee, v30
	v_fmamk_f16 v30, v127, 0x3aee, v103
	v_fmamk_f16 v109, v25, 0xbaee, v84
	v_fmac_f16_e32 v103, 0xbaee, v127
	v_fmac_f16_e32 v84, 0x3aee, v25
	v_pack_b32_f16 v25, v38, v36
	v_fmamk_f16 v36, v82, 0x3aee, v104
	v_fmac_f16_e32 v104, 0xbaee, v82
	v_fmamk_f16 v38, v83, 0xbaee, v118
	v_fmac_f16_e32 v118, 0x3aee, v83
	;; [unrolled: 2-line block ×4, first 2 shown]
	v_fmamk_f16 v27, v86, 0x3aee, v106
	v_fmamk_f16 v83, v85, 0xbaee, v23
	v_fmac_f16_e32 v23, 0x3aee, v85
	v_fmamk_f16 v85, v24, 0x3aee, v107
	v_fmac_f16_e32 v107, 0xbaee, v24
	;; [unrolled: 2-line block ×3, first 2 shown]
	v_add_f16_e32 v120, v126, v120
	v_add_f16_e32 v91, v116, v91
	v_add_f16_e64 v93, v130, v121
	v_add_f16_e64 v33, v128, v33
	v_add_f16_e32 v113, v115, v124
	v_fmac_f16_e32 v106, 0xbaee, v86
	v_fmamk_f16 v31, v90, 0x3aee, v108
	v_fmac_f16_e32 v108, 0xbaee, v90
	v_fmamk_f16 v86, v89, 0xbaee, v119
	;; [unrolled: 2-line block ×4, first 2 shown]
	v_fmac_f16_e32 v122, 0x3aee, v37
	v_pack_b32_f16 v35, v35, v92
	v_pack_b32_f16 v21, v110, v21
	;; [unrolled: 1-line block ×22, first 2 shown]
	ds_store_2addr_b32 v95, v34, v35 offset1:8
	ds_store_b32 v95, v21 offset:64
	ds_store_2addr_b32 v96, v26, v30 offset1:8
	ds_store_b32 v96, v84 offset:64
	;; [unrolled: 2-line block ×8, first 2 shown]
	v_lshlrev_b32_e32 v21, 3, v78
	v_mul_lo_u16 v26, v77, 24
	v_lshrrev_b32_e32 v83, 20, v94
	global_wb scope:SCOPE_SE
	s_wait_dscnt 0x0
	s_barrier_signal -1
	s_barrier_wait -1
	global_inv scope:SCOPE_SE
	s_clause 0x1
	global_load_b64 v[24:25], v102, s[8:9] offset:88
	global_load_b64 v[22:23], v21, s[8:9] offset:88
	v_sub_nc_u16 v21, v18, v26
	v_mul_lo_u16 v26, v83, 24
	v_and_b32_e32 v88, 0xffff, v16
	v_and_b32_e32 v89, 0xffff, v15
	;; [unrolled: 1-line block ×4, first 2 shown]
	v_sub_nc_u16 v21, v17, v26
	v_mul_u32_u24_e32 v26, 0xaaab, v88
	v_and_b32_e32 v77, 0xffff, v77
	v_mul_u32_u24_e32 v83, 0x120, v83
	v_lshlrev_b32_e32 v27, 3, v84
	v_and_b32_e32 v85, 0xffff, v21
	v_mul_u32_u24_e32 v21, 0xaaab, v89
	v_lshrrev_b32_e32 v86, 20, v26
	v_mul_u32_u24_e32 v104, 0x120, v74
	global_load_b64 v[28:29], v27, s[8:9] offset:88
	v_lshlrev_b32_e32 v26, 3, v85
	v_lshrrev_b32_e32 v87, 20, v21
	v_mul_lo_u16 v30, v86, 24
	v_and_b32_e32 v21, 0xff, v3
	v_mul_u32_u24_e32 v105, 0x120, v76
	global_load_b64 v[26:27], v26, s[8:9] offset:88
	v_mul_lo_u16 v31, v87, 24
	v_sub_nc_u16 v30, v16, v30
	v_mul_lo_u16 v21, 0xab, v21
	v_mul_u32_u24_e32 v77, 0x120, v77
	v_lshlrev_b32_e32 v78, 2, v78
	v_lshlrev_b32_e32 v84, 2, v84
	v_and_b32_e32 v90, 0xffff, v30
	v_sub_nc_u16 v30, v15, v31
	v_lshrrev_b16 v92, 12, v21
	v_mul_u32_u24_e32 v31, 0xaaab, v96
	v_lshlrev_b32_e32 v85, 2, v85
	v_lshlrev_b32_e32 v21, 3, v90
	v_and_b32_e32 v91, 0xffff, v30
	v_mul_lo_u16 v30, v92, 24
	v_lshrrev_b32_e32 v95, 20, v31
	v_add3_u32 v75, 0, v104, v75
	global_load_b64 v[38:39], v21, s[8:9] offset:88
	v_lshlrev_b32_e32 v21, 3, v91
	v_sub_nc_u16 v30, v3, v30
	v_add3_u32 v104, 0, v105, v78
	v_add3_u32 v105, 0, v77, v84
	;; [unrolled: 1-line block ×3, first 2 shown]
	global_load_b64 v[34:35], v21, s[8:9] offset:88
	v_and_b32_e32 v94, 0xff, v30
	v_add_nc_u32_e32 v36, -9, v3
	v_mul_u32_u24_e32 v97, 0xe38f, v88
	v_mul_u32_u24_e32 v96, 0xe38f, v96
	v_lshrrev_b16 v88, 12, v81
	v_lshlrev_b32_e32 v30, 3, v94
	s_wait_alu 0xf1ff
	v_cndmask_b32_e64 v82, v36, v5, s0
	v_mul_u32_u24_e32 v98, 0xe38f, v89
	v_lshrrev_b16 v89, 12, v79
	v_lshrrev_b32_e32 v81, 22, v80
	global_load_b64 v[32:33], v30, s[8:9] offset:88
	v_mul_lo_u16 v21, v95, 24
	v_lshrrev_b32_e32 v80, 22, v97
	v_lshrrev_b32_e32 v100, 22, v96
	;; [unrolled: 1-line block ×3, first 2 shown]
	v_mul_u32_u24_e32 v98, 0x120, v87
	v_sub_nc_u16 v21, v12, v21
	v_mul_u32_u24_e32 v95, 0x120, v95
	v_mul_lo_u16 v87, 0x48, v89
	v_mul_lo_u16 v99, 0x48, v81
	v_lshlrev_b32_e32 v94, 2, v94
	v_and_b32_e32 v93, 0xffff, v21
	v_lshlrev_b32_e32 v90, 2, v90
	v_lshlrev_b32_e32 v91, 2, v91
	v_sub_nc_u16 v74, v18, v87
	v_sub_nc_u16 v76, v17, v99
	v_lshlrev_b32_e32 v21, 3, v93
	v_lshlrev_b32_e32 v93, 2, v93
	v_add3_u32 v109, 0, v98, v91
	v_mul_lo_u16 v102, 0x48, v79
	v_mul_lo_u16 v101, 0x48, v80
	global_load_b64 v[30:31], v21, s[8:9] offset:88
	ds_load_2addr_b32 v[77:78], v65 offset0:47 offset1:110
	ds_load_2addr_b32 v[83:84], v41 offset0:55 offset1:118
	v_mov_b32_e32 v21, 0
	v_add3_u32 v110, 0, v95, v93
	v_and_b32_e32 v74, 0xff, v74
	v_and_b32_e32 v76, 0xffff, v76
	v_sub_nc_u16 v101, v16, v101
	v_lshlrev_b64_e32 v[36:37], 2, v[20:21]
	v_lshlrev_b32_e32 v20, 1, v82
	v_lshlrev_b32_e32 v107, 3, v74
	v_mul_u32_u24_e32 v79, 0x360, v79
	v_lshlrev_b32_e32 v74, 2, v74
	s_delay_alu instid0(VALU_DEP_4) | instskip(SKIP_3) | instid1(VALU_DEP_3)
	v_lshlrev_b64_e32 v[96:97], 2, v[20:21]
	v_and_b32_e32 v20, 0xffff, v92
	v_mul_u32_u24_e32 v92, 0x120, v86
	v_mul_lo_u16 v86, 0x48, v88
	v_mul_u32_u24_e32 v103, 0x120, v20
	s_wait_dscnt 0x1
	v_lshrrev_b32_e32 v126, 16, v78
	s_wait_dscnt 0x0
	v_lshrrev_b32_e32 v122, 16, v83
	v_sub_nc_u16 v20, v19, v86
	v_add_co_u32 v86, s0, s8, v96
	s_wait_alu 0xf1ff
	v_add_co_ci_u32_e64 v87, s0, s9, v97, s0
	v_add3_u32 v103, 0, v103, v94
	v_add3_u32 v108, 0, v92, v90
	ds_load_2addr_b32 v[90:91], v41 offset0:181 offset1:244
	ds_load_2addr_b32 v[92:93], v65 offset0:173 offset1:236
	;; [unrolled: 1-line block ×5, first 2 shown]
	ds_load_b32 v111, v53
	ds_load_b32 v112, v70
	;; [unrolled: 1-line block ×6, first 2 shown]
	ds_load_b32 v117, v13 offset:5796
	ds_load_b32 v118, v13
	ds_load_b32 v119, v73
	;; [unrolled: 1-line block ×3, first 2 shown]
	v_lshrrev_b32_e32 v121, 16, v77
	v_lshrrev_b32_e32 v124, 16, v84
	global_wb scope:SCOPE_SE
	s_wait_loadcnt_dscnt 0x0
	s_barrier_signal -1
	s_barrier_wait -1
	v_lshrrev_b32_e32 v127, 16, v90
	global_inv scope:SCOPE_SE
	v_and_b32_e32 v20, 0xff, v20
	s_delay_alu instid0(VALU_DEP_1) | instskip(SKIP_4) | instid1(VALU_DEP_3)
	v_lshlrev_b32_e32 v106, 3, v20
	v_lshlrev_b32_e32 v20, 2, v20
	v_lshrrev_b32_e32 v123, 16, v24
	v_lshrrev_b32_e32 v125, 16, v25
	;; [unrolled: 1-line block ×3, first 2 shown]
	v_mul_f16_e64 v128, v123, v83
	v_mul_f16_e32 v123, v123, v122
	s_delay_alu instid0(VALU_DEP_4) | instskip(SKIP_1) | instid1(VALU_DEP_4)
	v_mul_f16_e64 v130, v77, v125
	v_mul_f16_e32 v125, v121, v125
	v_fmac_f16_e64 v128, v24, v122
	v_lshrrev_b32_e32 v122, 16, v23
	v_fma_f16 v24, v24, v83, -v123
	v_fmac_f16_e64 v130, v121, v25
	v_mul_f16_e64 v121, v124, v129
	v_fma_f16 v25, v77, v25, -v125
	v_mul_f16_e32 v123, v126, v122
	v_mul_f16_e32 v122, v78, v122
	v_lshrrev_b32_e32 v77, 16, v92
	v_mul_f16_e64 v83, v84, v129
	v_lshrrev_b32_e32 v125, 16, v93
	v_fma_f16 v78, v78, v23, -v123
	v_lshrrev_b32_e32 v123, 16, v28
	v_fmac_f16_e32 v122, v126, v23
	v_lshrrev_b32_e32 v129, 16, v29
	v_fma_f16 v84, v84, v22, -v121
	v_lshrrev_b32_e32 v121, 16, v91
	v_mul_f16_e32 v23, v90, v123
	v_mul_f16_e32 v123, v127, v123
	v_fmac_f16_e32 v83, v124, v22
	v_lshrrev_b32_e32 v124, 16, v26
	v_mul_f16_e64 v126, v92, v129
	v_fmac_f16_e32 v23, v127, v28
	v_lshrrev_b32_e32 v127, 16, v27
	v_mul_f16_e64 v129, v77, v129
	v_fma_f16 v28, v90, v28, -v123
	v_lshrrev_b32_e32 v22, 16, v94
	v_fmac_f16_e32 v126, v77, v29
	v_mul_f16_e32 v123, v125, v127
	v_mul_f16_e32 v77, v121, v124
	v_fma_f16 v29, v92, v29, -v129
	v_lshrrev_b32_e32 v90, 16, v96
	v_mul_f16_e32 v92, v91, v124
	v_mul_f16_e32 v127, v93, v127
	v_fma_f16 v93, v93, v27, -v123
	v_lshrrev_b32_e32 v123, 16, v38
	v_lshrrev_b32_e32 v129, 16, v39
	v_fma_f16 v77, v91, v26, -v77
	v_lshrrev_b32_e32 v91, 16, v95
	v_fmac_f16_e32 v92, v121, v26
	v_fmac_f16_e32 v127, v125, v27
	v_mul_f16_e32 v27, v94, v123
	v_lshrrev_b32_e32 v121, 16, v34
	v_mul_f16_e64 v125, v96, v129
	v_mul_f16_e32 v123, v22, v123
	v_mul_f16_e64 v129, v90, v129
	v_lshrrev_b32_e32 v26, 16, v119
	v_fmac_f16_e32 v27, v22, v38
	v_fmac_f16_e32 v125, v90, v39
	v_mul_f16_e32 v90, v91, v121
	v_fma_f16 v38, v94, v38, -v123
	v_fma_f16 v39, v96, v39, -v129
	v_mul_f16_e32 v96, v95, v121
	v_lshrrev_b32_e32 v123, 16, v32
	v_lshrrev_b32_e32 v124, 16, v97
	;; [unrolled: 1-line block ×3, first 2 shown]
	v_fma_f16 v90, v95, v34, -v90
	v_fmac_f16_e32 v96, v91, v34
	v_mul_f16_e32 v34, v123, v26
	v_lshrrev_b32_e32 v95, 16, v98
	v_mul_f16_e32 v121, v124, v22
	v_mul_f16_e32 v123, v123, v119
	v_lshrrev_b32_e32 v94, 16, v99
	v_fma_f16 v34, v32, v119, -v34
	v_mul_f16_e32 v22, v97, v22
	v_fma_f16 v97, v97, v35, -v121
	v_lshrrev_b32_e32 v121, 16, v117
	v_lshrrev_b32_e32 v129, 16, v33
	;; [unrolled: 1-line block ×3, first 2 shown]
	v_fmac_f16_e32 v123, v32, v26
	v_lshrrev_b32_e32 v26, 16, v31
	v_fmac_f16_e32 v22, v124, v35
	v_mul_f16_e64 v124, v129, v99
	v_mul_f16_e32 v32, v95, v119
	v_mul_f16_e64 v129, v129, v94
	v_mul_f16_e32 v119, v98, v119
	v_lshrrev_b32_e32 v35, 16, v118
	v_fmac_f16_e32 v124, v33, v94
	v_fma_f16 v32, v98, v30, -v32
	v_mul_f16_e32 v98, v121, v26
	v_mul_f16_e32 v26, v117, v26
	v_fma_f16 v33, v33, v99, -v129
	v_fmac_f16_e32 v119, v95, v30
	v_lshrrev_b32_e32 v91, 16, v111
	v_fma_f16 v95, v117, v31, -v98
	v_fmac_f16_e32 v26, v121, v31
	v_add_f16_e32 v31, v118, v34
	v_add_f16_e32 v117, v34, v33
	v_sub_f16_e32 v34, v34, v33
	v_add_f16_e32 v121, v35, v123
	v_lshrrev_b32_e32 v94, 16, v112
	v_add_f16_e32 v31, v31, v33
	v_add_f16_e32 v33, v123, v124
	v_fmac_f16_e32 v118, -0.5, v117
	v_add_f16_e32 v117, v111, v24
	v_sub_f16_e32 v123, v123, v124
	v_add_f16_e32 v121, v121, v124
	v_fmac_f16_e32 v35, -0.5, v33
	v_add_f16_e64 v33, v91, v128
	v_add_f16_e32 v124, v24, v25
	v_sub_f16_e32 v24, v24, v25
	v_add_f16_e32 v25, v117, v25
	v_add_f16_e64 v117, v128, v130
	v_sub_f16_e64 v128, v128, v130
	v_add_f16_e64 v33, v33, v130
	v_add_f16_e64 v130, v84, v78
	v_fmac_f16_e32 v111, -0.5, v124
	v_add_f16_e32 v124, v112, v84
	v_fmac_f16_e32 v91, -0.5, v117
	v_add_f16_e32 v117, v94, v83
	v_fmac_f16_e64 v112, -0.5, v130
	v_add_f16_e64 v130, v113, v28
	v_lshrrev_b32_e32 v99, 16, v113
	v_lshrrev_b32_e32 v129, 16, v114
	v_sub_f16_e32 v84, v84, v78
	v_add_f16_e32 v78, v124, v78
	v_add_f16_e32 v124, v83, v122
	v_sub_f16_e32 v83, v83, v122
	v_add_f16_e32 v117, v117, v122
	v_add_f16_e32 v122, v28, v29
	v_sub_f16_e32 v28, v28, v29
	v_add_f16_e64 v29, v130, v29
	v_add_f16_e64 v130, v23, v126
	v_fmac_f16_e32 v94, -0.5, v124
	v_add_f16_e32 v124, v99, v23
	v_fmac_f16_e32 v113, -0.5, v122
	v_add_f16_e32 v122, v114, v77
	v_fmac_f16_e64 v99, -0.5, v130
	v_add_f16_e64 v130, v129, v92
	v_lshrrev_b32_e32 v30, 16, v115
	v_sub_f16_e32 v23, v23, v126
	v_add_f16_e32 v124, v124, v126
	v_add_f16_e32 v126, v77, v93
	v_sub_f16_e32 v77, v77, v93
	v_add_f16_e32 v93, v122, v93
	v_add_f16_e32 v122, v92, v127
	v_sub_f16_e32 v92, v92, v127
	v_add_f16_e64 v127, v130, v127
	v_add_f16_e64 v130, v38, v39
	v_fmac_f16_e32 v114, -0.5, v126
	v_add_f16_e32 v126, v115, v38
	v_fmac_f16_e64 v129, -0.5, v122
	v_add_f16_e32 v122, v30, v27
	v_fmac_f16_e64 v115, -0.5, v130
	v_add_f16_e64 v130, v116, v90
	v_lshrrev_b32_e32 v98, 16, v116
	v_sub_f16_e32 v38, v38, v39
	v_add_f16_e32 v39, v126, v39
	v_add_f16_e32 v126, v27, v125
	v_sub_f16_e32 v27, v27, v125
	v_add_f16_e32 v122, v122, v125
	v_add_f16_e32 v125, v90, v97
	v_sub_f16_e32 v90, v90, v97
	v_add_f16_e64 v97, v130, v97
	v_add_f16_e64 v130, v96, v22
	v_fmac_f16_e32 v30, -0.5, v126
	v_add_f16_e32 v126, v98, v96
	v_fmac_f16_e32 v116, -0.5, v125
	v_lshrrev_b32_e32 v125, 16, v120
	v_fmac_f16_e64 v98, -0.5, v130
	v_add_f16_e64 v130, v32, v95
	v_sub_f16_e32 v96, v96, v22
	v_add_f16_e32 v22, v126, v22
	v_add_f16_e32 v126, v120, v32
	v_sub_f16_e32 v32, v32, v95
	v_fmac_f16_e64 v120, -0.5, v130
	v_add_f16_e64 v130, v119, v26
	v_pack_b32_f16 v31, v31, v121
	v_add_f16_e32 v95, v126, v95
	v_add_f16_e32 v126, v125, v119
	v_sub_f16_e32 v119, v119, v26
	v_fmac_f16_e64 v125, -0.5, v130
	v_fmamk_f16 v121, v123, 0x3aee, v118
	v_fmac_f16_e32 v118, 0xbaee, v123
	v_fmamk_f16 v123, v34, 0xbaee, v35
	v_fmac_f16_e32 v35, 0x3aee, v34
	v_pack_b32_f16 v25, v25, v33
	v_fma_f16 v33, 0x3aee, v128, v111
	v_fmamk_f16 v34, v24, 0xbaee, v91
	v_fmac_f16_e64 v111, 0xbaee, v128
	v_fmac_f16_e32 v91, 0x3aee, v24
	v_pack_b32_f16 v24, v78, v117
	v_fmamk_f16 v78, v83, 0x3aee, v112
	v_fmac_f16_e32 v112, 0xbaee, v83
	v_fmamk_f16 v83, v84, 0xbaee, v94
	v_add_f16_e32 v26, v126, v26
	v_fmac_f16_e32 v94, 0x3aee, v84
	v_fmamk_f16 v84, v23, 0x3aee, v113
	v_fmac_f16_e32 v113, 0xbaee, v23
	v_fmamk_f16 v23, v28, 0xbaee, v99
	;; [unrolled: 2-line block ×3, first 2 shown]
	v_fmac_f16_e32 v114, 0xbaee, v92
	v_fma_f16 v92, 0xbaee, v77, v129
	v_fmac_f16_e64 v129, 0x3aee, v77
	v_fmamk_f16 v77, v27, 0x3aee, v115
	v_fmac_f16_e32 v115, 0xbaee, v27
	v_fmamk_f16 v27, v38, 0xbaee, v30
	v_fmac_f16_e32 v30, 0x3aee, v38
	;; [unrolled: 2-line block ×6, first 2 shown]
	v_pack_b32_f16 v32, v93, v127
	v_pack_b32_f16 v93, v121, v123
	;; [unrolled: 1-line block ×21, first 2 shown]
	ds_store_2addr_b32 v103, v31, v93 offset1:24
	ds_store_b32 v103, v35 offset:192
	ds_store_2addr_b32 v75, v25, v33 offset1:24
	ds_store_b32 v75, v34 offset:192
	ds_store_2addr_b32 v104, v24, v78 offset1:24
	ds_store_b32 v104, v83 offset:192
	ds_store_2addr_b32 v105, v29, v23 offset1:24
	ds_store_b32 v105, v84 offset:192
	ds_store_2addr_b32 v85, v32, v28 offset1:24
	ds_store_b32 v85, v91 offset:192
	ds_store_2addr_b32 v108, v39, v27 offset1:24
	ds_store_b32 v108, v30 offset:192
	ds_store_2addr_b32 v109, v22, v38 offset1:24
	ds_store_b32 v109, v77 offset:192
	ds_store_2addr_b32 v110, v26, v90 offset1:24
	ds_store_b32 v110, v92 offset:192
	v_sub_nc_u16 v32, v15, v102
	global_wb scope:SCOPE_SE
	s_wait_dscnt 0x0
	s_barrier_signal -1
	s_barrier_wait -1
	global_inv scope:SCOPE_SE
	v_and_b32_e32 v77, 0xffff, v32
	s_clause 0x1
	global_load_b64 v[26:27], v[86:87], off offset:280
	global_load_b64 v[24:25], v106, s[8:9] offset:280
	v_lshlrev_b32_e32 v22, 3, v76
	v_mul_lo_u16 v23, 0x48, v100
	v_lshlrev_b32_e32 v32, 3, v77
	v_and_b32_e32 v75, 0xffff, v101
	s_clause 0x1
	global_load_b64 v[30:31], v107, s[8:9] offset:280
	global_load_b64 v[28:29], v22, s[8:9] offset:280
	v_and_b32_e32 v83, 0xffff, v89
	global_load_b64 v[32:33], v32, s[8:9] offset:280
	v_sub_nc_u16 v22, v12, v23
	v_lshlrev_b32_e32 v23, 3, v75
	v_lshlrev_b32_e32 v76, 2, v76
	;; [unrolled: 1-line block ×4, first 2 shown]
	v_and_b32_e32 v78, 0xffff, v22
	v_add_co_u32 v22, s0, s8, v36
	global_load_b64 v[38:39], v23, s[8:9] offset:280
	s_wait_alu 0xf1ff
	v_add_co_ci_u32_e64 v23, s0, s9, v37, s0
	v_lshlrev_b32_e32 v34, 3, v78
	s_clause 0x1
	global_load_b64 v[36:37], v[22:23], off offset:280
	global_load_b64 v[34:35], v34, s[8:9] offset:280
	v_cmp_lt_u32_e64 s0, 8, v3
	v_lshlrev_b32_e32 v23, 2, v82
	v_and_b32_e32 v82, 0xffff, v88
	v_lshl_add_u32 v89, v78, 2, 0
	v_add3_u32 v93, 0, v79, v77
	s_wait_alu 0xf1ff
	v_cndmask_b32_e64 v22, 0, 0x360, s0
	v_cmp_gt_u32_e64 s0, 27, v3
	v_add_nc_u32_e32 v94, 0x1400, v89
	s_delay_alu instid0(VALU_DEP_3) | instskip(SKIP_4) | instid1(VALU_DEP_4)
	v_add3_u32 v88, 0, v22, v23
	v_mul_u32_u24_e32 v22, 0x360, v81
	v_mul_u32_u24_e32 v23, 0x360, v80
	;; [unrolled: 1-line block ×4, first 2 shown]
	v_add3_u32 v91, 0, v22, v76
	s_delay_alu instid0(VALU_DEP_4) | instskip(NEXT) | instid1(VALU_DEP_4)
	v_add3_u32 v92, 0, v23, v75
	v_add3_u32 v20, 0, v80, v20
	s_delay_alu instid0(VALU_DEP_4)
	v_add3_u32 v90, 0, v81, v74
	ds_load_2addr_b32 v[74:75], v41 offset0:55 offset1:118
	ds_load_2addr_b32 v[76:77], v65 offset0:47 offset1:110
	;; [unrolled: 1-line block ×6, first 2 shown]
	ds_load_b32 v22, v73
	ds_load_2addr_b32 v[86:87], v42 offset0:177 offset1:240
	ds_load_b32 v95, v53
	ds_load_b32 v96, v70
	;; [unrolled: 1-line block ×6, first 2 shown]
	ds_load_b32 v72, v13 offset:5796
	ds_load_b32 v99, v13
	ds_load_b32 v23, v43
	global_wb scope:SCOPE_SE
	s_wait_loadcnt_dscnt 0x0
	s_barrier_signal -1
	s_barrier_wait -1
	v_lshrrev_b32_e32 v43, 16, v74
	v_lshrrev_b32_e32 v73, 16, v76
	;; [unrolled: 1-line block ×24, first 2 shown]
	global_inv scope:SCOPE_SE
	v_lshrrev_b32_e32 v122, 16, v27
	v_lshrrev_b32_e32 v121, 16, v26
	;; [unrolled: 1-line block ×4, first 2 shown]
	s_delay_alu instid0(VALU_DEP_4)
	v_mul_f16_e64 v129, v76, v122
	v_mul_f16_e32 v122, v73, v122
	v_lshrrev_b32_e32 v126, 16, v31
	v_mul_f16_e32 v127, v121, v74
	v_mul_f16_e32 v121, v121, v43
	v_fmac_f16_e64 v129, v73, v27
	v_mul_f16_e32 v73, v100, v123
	v_fma_f16 v27, v76, v27, -v122
	v_mul_f16_e32 v76, v75, v123
	v_mul_f16_e32 v123, v77, v124
	v_lshrrev_b32_e32 v125, 16, v30
	v_lshrrev_b32_e32 v128, 16, v28
	v_fmac_f16_e32 v127, v26, v43
	v_fma_f16 v26, v26, v74, -v121
	v_mul_f16_e32 v121, v101, v124
	v_fmac_f16_e32 v123, v101, v25
	v_mul_f16_e32 v101, v80, v126
	v_lshrrev_b32_e32 v43, 16, v29
	v_fma_f16 v73, v75, v24, -v73
	v_fma_f16 v77, v77, v25, -v121
	v_lshrrev_b32_e32 v124, 16, v36
	v_fmac_f16_e32 v76, v100, v24
	v_mul_f16_e32 v24, v78, v125
	v_lshrrev_b32_e32 v25, 16, v37
	v_mul_f16_e32 v125, v102, v125
	v_mul_f16_e32 v126, v103, v126
	v_fmac_f16_e32 v101, v103, v31
	v_mul_f16_e64 v103, v104, v128
	v_mul_f16_e64 v128, v79, v128
	v_lshrrev_b32_e32 v74, 16, v38
	v_lshrrev_b32_e32 v75, 16, v39
	;; [unrolled: 1-line block ×5, first 2 shown]
	v_fmac_f16_e32 v24, v102, v30
	v_fma_f16 v30, v78, v30, -v125
	v_fma_f16 v31, v80, v31, -v126
	v_mul_f16_e32 v78, v105, v43
	v_mul_f16_e32 v43, v81, v43
	v_fma_f16 v79, v79, v28, -v103
	v_mul_f16_e32 v126, v124, v110
	v_fmac_f16_e64 v128, v104, v28
	v_mul_f16_e32 v28, v25, v87
	v_mul_f16_e32 v25, v25, v111
	v_lshrrev_b32_e32 v102, 16, v35
	v_mul_f16_e32 v124, v124, v22
	v_mul_f16_e32 v80, v82, v74
	;; [unrolled: 1-line block ×7, first 2 shown]
	v_fma_f16 v78, v81, v29, -v78
	v_mul_f16_e32 v81, v109, v121
	v_mul_f16_e32 v121, v85, v121
	v_fmac_f16_e32 v43, v105, v29
	v_mul_f16_e32 v29, v112, v100
	v_mul_f16_e32 v100, v86, v100
	v_fma_f16 v22, v36, v22, -v126
	v_fma_f16 v25, v37, v87, -v25
	v_mul_f16_e32 v104, v113, v102
	v_mul_f16_e32 v102, v72, v102
	v_fmac_f16_e32 v124, v36, v110
	v_fmac_f16_e32 v28, v37, v111
	;; [unrolled: 1-line block ×4, first 2 shown]
	v_fma_f16 v38, v82, v38, -v74
	v_fma_f16 v39, v84, v39, -v75
	;; [unrolled: 1-line block ×4, first 2 shown]
	v_fmac_f16_e32 v122, v108, v32
	v_fmac_f16_e32 v121, v109, v33
	v_fma_f16 v29, v86, v34, -v29
	v_fmac_f16_e32 v100, v112, v34
	v_add_f16_e32 v33, v99, v22
	v_add_f16_e32 v34, v22, v25
	v_fma_f16 v32, v72, v35, -v104
	v_fmac_f16_e32 v102, v113, v35
	v_add_f16_e32 v35, v114, v124
	v_add_f16_e32 v36, v124, v28
	;; [unrolled: 1-line block ×4, first 2 shown]
	v_add_f16_e64 v83, v127, v129
	v_sub_f16_e32 v22, v22, v25
	v_sub_f16_e64 v84, v127, v129
	v_add_f16_e32 v86, v73, v77
	v_add_f16_e32 v104, v76, v123
	;; [unrolled: 1-line block ×5, first 2 shown]
	v_add_f16_e64 v112, v128, v43
	v_add_f16_e32 v125, v38, v39
	v_add_f16_e32 v127, v80, v103
	;; [unrolled: 1-line block ×4, first 2 shown]
	v_fmac_f16_e32 v99, -0.5, v34
	v_add_f16_e32 v34, v122, v121
	v_sub_f16_e32 v37, v124, v28
	v_add_f16_e32 v72, v95, v26
	v_add_f16_e32 v28, v35, v28
	v_fmac_f16_e32 v114, -0.5, v36
	v_add_f16_e32 v36, v23, v29
	v_add_f16_e64 v130, v29, v32
	v_add_f16_e64 v82, v82, v129
	;; [unrolled: 1-line block ×3, first 2 shown]
	v_sub_f16_e32 v26, v26, v27
	v_add_f16_e32 v35, v120, v122
	v_fmac_f16_e32 v95, -0.5, v81
	v_fmac_f16_e32 v115, -0.5, v83
	v_add_f16_e32 v85, v96, v73
	v_sub_f16_e32 v87, v73, v77
	v_add_f16_e32 v73, v116, v76
	v_sub_f16_e32 v76, v76, v123
	;; [unrolled: 2-line block ×5, first 2 shown]
	v_add_f16_e64 v111, v118, v128
	v_sub_f16_e64 v113, v128, v43
	v_add_f16_e32 v124, v97, v38
	v_sub_f16_e32 v38, v38, v39
	v_add_f16_e32 v126, v119, v80
	v_sub_f16_e32 v80, v80, v103
	v_add_f16_e64 v128, v98, v74
	v_sub_f16_e32 v74, v74, v75
	v_sub_f16_e32 v122, v122, v121
	v_add_f16_e32 v81, v71, v100
	v_fmac_f16_e32 v96, -0.5, v86
	v_fmac_f16_e32 v116, -0.5, v104
	;; [unrolled: 1-line block ×10, first 2 shown]
	v_add_f16_e32 v27, v72, v27
	v_sub_f16_e32 v29, v29, v32
	v_sub_f16_e32 v100, v100, v102
	v_add_f16_e32 v72, v36, v32
	v_fmac_f16_e64 v23, -0.5, v130
	v_fmac_f16_e64 v71, -0.5, v129
	v_pack_b32_f16 v25, v25, v28
	v_fmamk_f16 v28, v37, 0x3aee, v99
	v_fmamk_f16 v32, v22, 0xbaee, v114
	v_fmac_f16_e32 v99, 0xbaee, v37
	v_fmac_f16_e32 v114, 0x3aee, v22
	v_add_f16_e32 v33, v35, v121
	v_fmamk_f16 v34, v84, 0x3aee, v95
	v_fmamk_f16 v35, v26, 0xbaee, v115
	v_fmac_f16_e32 v95, 0xbaee, v84
	v_fmac_f16_e32 v115, 0x3aee, v26
	v_add_f16_e32 v77, v85, v77
	v_add_f16_e32 v83, v73, v123
	;; [unrolled: 1-line block ×8, first 2 shown]
	v_add_f16_e64 v75, v128, v75
	v_add_f16_e32 v73, v81, v102
	v_fmamk_f16 v26, v76, 0x3aee, v96
	v_fmac_f16_e32 v96, 0xbaee, v76
	v_fmamk_f16 v36, v87, 0xbaee, v116
	v_fmac_f16_e32 v116, 0x3aee, v87
	;; [unrolled: 2-line block ×8, first 2 shown]
	v_fmamk_f16 v38, v122, 0x3aee, v98
	v_fmamk_f16 v81, v74, 0xbaee, v120
	v_fmac_f16_e32 v98, 0xbaee, v122
	v_fmac_f16_e32 v120, 0x3aee, v74
	v_fmamk_f16 v22, v100, 0x3aee, v23
	v_fmac_f16_e32 v23, 0xbaee, v100
	v_fmamk_f16 v74, v29, 0xbaee, v71
	v_fmac_f16_e32 v71, 0x3aee, v29
	v_pack_b32_f16 v28, v28, v32
	v_pack_b32_f16 v32, v99, v114
	;; [unrolled: 1-line block ×23, first 2 shown]
	ds_store_2addr_b32 v13, v25, v28 offset1:72
	ds_store_b32 v13, v32 offset:576
	ds_store_2addr_b32 v88, v27, v34 offset1:72
	ds_store_b32 v88, v35 offset:576
	;; [unrolled: 2-line block ×7, first 2 shown]
	ds_store_2addr_b32 v94, v75, v78 offset0:16 offset1:88
	ds_store_b32 v89, v79 offset:5760
	global_wb scope:SCOPE_SE
	s_wait_dscnt 0x0
	s_barrier_signal -1
	s_barrier_wait -1
	global_inv scope:SCOPE_SE
	ds_load_2addr_b32 v[28:29], v13 offset1:216
	ds_load_2addr_b32 v[44:45], v64 offset0:176 offset1:239
	ds_load_2addr_b32 v[32:33], v41 offset0:46 offset1:136
	;; [unrolled: 1-line block ×8, first 2 shown]
	ds_load_b32 v70, v70
	ds_load_b32 v75, v53
	ds_load_b32 v76, v13 offset:5688
	v_sub_nc_u32_e32 v20, 0, v69
                                        ; implicit-def: $vgpr64
                                        ; implicit-def: $vgpr25
                                        ; implicit-def: $vgpr67
                                        ; implicit-def: $vgpr27
                                        ; implicit-def: $vgpr65
                                        ; implicit-def: $vgpr66
	s_delay_alu instid0(VALU_DEP_1)
	v_add_nc_u32_e32 v63, v63, v20
	s_and_saveexec_b32 s1, s0
	s_cbranch_execz .LBB0_15
; %bb.14:
	v_add_nc_u32_e32 v20, 0xd00, v13
	v_add_nc_u32_e32 v26, 0x1380, v13
	ds_load_b32 v72, v63
	ds_load_2addr_b32 v[22:23], v62 offset0:21 offset1:237
	ds_load_2addr_b32 v[24:25], v20 offset0:5 offset1:221
	;; [unrolled: 1-line block ×3, first 2 shown]
	s_wait_dscnt 0x3
	v_lshrrev_b32_e32 v73, 16, v72
	s_wait_dscnt 0x2
	v_lshrrev_b32_e32 v74, 16, v22
	v_lshrrev_b32_e32 v71, 16, v23
	s_wait_dscnt 0x1
	v_lshrrev_b32_e32 v66, 16, v24
	;; [unrolled: 3-line block ×3, first 2 shown]
	v_lshrrev_b32_e32 v67, 16, v27
.LBB0_15:
	s_wait_alu 0xfffe
	s_or_b32 exec_lo, exec_lo, s1
	v_mul_u32_u24_e32 v20, 6, v3
	s_wait_dscnt 0x6
	v_lshrrev_b32_e32 v106, 16, v40
	v_lshrrev_b32_e32 v107, 16, v31
	;; [unrolled: 1-line block ×4, first 2 shown]
	v_lshlrev_b32_e32 v62, 2, v20
	v_mul_i32_i24_e32 v20, 6, v5
	v_lshrrev_b32_e32 v110, 16, v44
	v_lshrrev_b32_e32 v111, 16, v29
	s_wait_dscnt 0x3
	v_lshrrev_b32_e32 v96, 16, v34
	s_clause 0x1
	global_load_b128 v[77:80], v62, s[8:9] offset:856
	global_load_b64 v[89:90], v62, s[8:9] offset:872
	v_lshlrev_b64_e32 v[81:82], 2, v[20:21]
	v_mul_i32_i24_e32 v20, 6, v19
	v_lshrrev_b32_e32 v97, 16, v41
	v_lshrrev_b32_e32 v104, 16, v45
	v_lshrrev_b32_e32 v105, 16, v38
	v_lshrrev_b32_e32 v69, 16, v36
	v_lshlrev_b64_e32 v[20:21], 2, v[20:21]
	v_add_co_u32 v85, s1, s8, v81
	s_wait_alu 0xf1ff
	v_add_co_ci_u32_e64 v86, s1, s9, v82, s1
	v_lshrrev_b32_e32 v95, 16, v43
	s_delay_alu instid0(VALU_DEP_4)
	v_add_co_u32 v20, s1, s8, v20
	s_clause 0x1
	global_load_b128 v[81:84], v[85:86], off offset:856
	global_load_b64 v[91:92], v[85:86], off offset:872
	s_wait_alu 0xf1ff
	v_add_co_ci_u32_e64 v21, s1, s9, v21, s1
	s_clause 0x1
	global_load_b128 v[85:88], v[20:21], off offset:856
	global_load_b64 v[93:94], v[20:21], off offset:872
	v_lshrrev_b32_e32 v98, 16, v39
	v_lshrrev_b32_e32 v99, 16, v32
	;; [unrolled: 1-line block ×3, first 2 shown]
	s_wait_dscnt 0x0
	v_lshrrev_b32_e32 v103, 16, v76
	v_lshrrev_b32_e32 v101, 16, v30
	;; [unrolled: 1-line block ×6, first 2 shown]
	v_add_nc_u32_e32 v112, 0x680, v13
	v_add_nc_u32_e32 v113, 0xd00, v13
	global_wb scope:SCOPE_SE
	s_wait_loadcnt 0x0
	s_barrier_signal -1
	s_barrier_wait -1
	global_inv scope:SCOPE_SE
	v_lshrrev_b32_e32 v114, 16, v77
	v_lshrrev_b32_e32 v115, 16, v78
	;; [unrolled: 1-line block ×6, first 2 shown]
	v_mul_f16_e32 v120, v114, v111
	v_mul_f16_e32 v114, v114, v29
	;; [unrolled: 1-line block ×12, first 2 shown]
	v_lshrrev_b32_e32 v126, 16, v81
	v_lshrrev_b32_e32 v127, 16, v82
	;; [unrolled: 1-line block ×6, first 2 shown]
	v_fma_f16 v29, v77, v29, -v120
	v_fmac_f16_e32 v114, v77, v111
	v_fma_f16 v44, v78, v44, -v121
	v_fmac_f16_e32 v115, v78, v110
	;; [unrolled: 2-line block ×6, first 2 shown]
	v_mul_f16_e32 v77, v126, v105
	v_mul_f16_e32 v78, v126, v38
	;; [unrolled: 1-line block ×4, first 2 shown]
	v_mul_f16_e64 v90, v36, v128
	v_mul_f16_e64 v107, v43, v129
	v_mul_f16_e64 v108, v96, v130
	v_mul_f16_e64 v109, v34, v130
	v_mul_f16_e64 v110, v97, v131
	v_mul_f16_e64 v111, v41, v131
	v_lshrrev_b32_e32 v120, 16, v85
	v_lshrrev_b32_e32 v121, 16, v86
	;; [unrolled: 1-line block ×4, first 2 shown]
	v_mul_f16_e64 v89, v69, v128
	v_mul_f16_e64 v106, v95, v129
	v_lshrrev_b32_e32 v123, 16, v88
	v_lshrrev_b32_e32 v124, 16, v93
	v_add_f16_e32 v126, v29, v40
	v_add_f16_e32 v127, v114, v119
	v_sub_f16_e32 v29, v29, v40
	v_sub_f16_e32 v40, v114, v119
	v_add_f16_e32 v114, v44, v31
	v_add_f16_e32 v119, v115, v118
	v_sub_f16_e32 v31, v44, v31
	v_sub_f16_e32 v44, v115, v118
	v_add_f16_e32 v115, v33, v42
	v_sub_f16_e32 v33, v42, v33
	v_fma_f16 v38, v81, v38, -v77
	v_fmac_f16_e32 v78, v81, v105
	v_fma_f16 v45, v82, v45, -v79
	v_fmac_f16_e32 v80, v82, v104
	v_fmac_f16_e32 v90, v69, v83
	;; [unrolled: 1-line block ×3, first 2 shown]
	v_fma_f16 v34, v34, v91, -v108
	v_fmac_f16_e32 v109, v96, v91
	v_fma_f16 v41, v41, v92, -v110
	v_fmac_f16_e32 v111, v97, v92
	v_mul_f16_e32 v69, v98, v120
	v_mul_f16_e32 v79, v99, v121
	;; [unrolled: 1-line block ×4, first 2 shown]
	v_fma_f16 v36, v36, v83, -v89
	v_fma_f16 v43, v43, v84, -v106
	v_mul_f16_e32 v77, v39, v120
	v_mul_f16_e32 v81, v32, v121
	;; [unrolled: 1-line block ×6, first 2 shown]
	v_add_f16_e32 v118, v116, v117
	v_sub_f16_e32 v42, v117, v116
	v_mul_f16_e32 v83, v37, v122
	v_mul_f16_e32 v89, v30, v123
	v_add_f16_e32 v97, v114, v126
	v_add_f16_e32 v104, v119, v127
	v_sub_f16_e32 v105, v114, v126
	v_sub_f16_e32 v108, v126, v115
	;; [unrolled: 1-line block ×3, first 2 shown]
	v_add_f16_e32 v117, v33, v31
	v_sub_f16_e32 v120, v33, v31
	v_sub_f16_e32 v31, v31, v29
	v_fma_f16 v39, v39, v85, -v69
	v_fma_f16 v32, v32, v86, -v79
	;; [unrolled: 1-line block ×4, first 2 shown]
	v_add_f16_e32 v76, v38, v41
	v_add_f16_e32 v79, v78, v111
	v_sub_f16_e32 v38, v38, v41
	v_sub_f16_e32 v41, v78, v111
	v_add_f16_e32 v78, v45, v34
	v_add_f16_e32 v82, v80, v109
	v_fmac_f16_e32 v77, v98, v85
	v_fmac_f16_e32 v81, v99, v86
	v_fma_f16 v30, v30, v88, -v84
	v_fma_f16 v35, v35, v93, -v91
	v_fmac_f16_e32 v92, v102, v93
	v_fmac_f16_e32 v96, v103, v94
	v_sub_f16_e32 v34, v45, v34
	v_sub_f16_e32 v45, v80, v109
	v_add_f16_e32 v80, v36, v43
	v_add_f16_e32 v84, v90, v107
	v_sub_f16_e32 v36, v43, v36
	v_sub_f16_e32 v43, v107, v90
	v_sub_f16_e32 v106, v119, v127
	v_sub_f16_e32 v110, v127, v118
	v_sub_f16_e32 v116, v118, v119
	v_add_f16_e32 v119, v42, v44
	v_sub_f16_e32 v121, v42, v44
	v_sub_f16_e32 v33, v29, v33
	;; [unrolled: 1-line block ×3, first 2 shown]
	v_fmac_f16_e32 v83, v100, v87
	v_fmac_f16_e32 v89, v101, v88
	v_add_f16_e32 v85, v115, v97
	v_add_f16_e32 v86, v118, v104
	v_mul_f16_e32 v87, 0x3a52, v108
	v_mul_f16_e32 v90, 0x2b26, v114
	;; [unrolled: 1-line block ×4, first 2 shown]
	v_add_f16_e32 v98, v78, v76
	v_add_f16_e32 v99, v82, v79
	v_sub_f16_e32 v101, v82, v79
	v_sub_f16_e32 v79, v79, v84
	v_add_f16_e32 v102, v36, v34
	v_add_f16_e32 v103, v43, v45
	v_sub_f16_e32 v104, v36, v34
	v_sub_f16_e32 v34, v34, v38
	;; [unrolled: 4-line block ×3, first 2 shown]
	v_add_f16_e32 v77, v32, v35
	v_add_f16_e32 v96, v81, v92
	v_sub_f16_e32 v42, v40, v42
	v_add_f16_e32 v29, v117, v29
	v_mul_f16_e32 v88, 0x3a52, v110
	v_mul_f16_e32 v91, 0x2b26, v116
	;; [unrolled: 1-line block ×4, first 2 shown]
	v_sub_f16_e32 v100, v78, v76
	v_sub_f16_e32 v76, v76, v80
	;; [unrolled: 1-line block ×8, first 2 shown]
	v_add_f16_e32 v81, v37, v30
	v_add_f16_e32 v92, v83, v89
	v_sub_f16_e32 v30, v30, v37
	v_sub_f16_e32 v37, v89, v83
	v_add_f16_e32 v28, v28, v85
	v_add_f16_e32 v62, v62, v86
	v_fmamk_f16 v83, v114, 0x2b26, v87
	v_fma_f16 v90, v105, 0x39e0, -v90
	v_fma_f16 v87, v105, 0xb9e0, -v87
	v_fmamk_f16 v105, v33, 0x3574, v93
	v_fma_f16 v31, v31, 0x3b00, -v93
	v_fma_f16 v33, v33, 0xb574, -v95
	v_add_f16_e32 v80, v80, v98
	v_add_f16_e32 v84, v84, v99
	v_sub_f16_e32 v36, v38, v36
	v_sub_f16_e32 v43, v41, v43
	v_add_f16_e32 v38, v102, v38
	v_add_f16_e32 v41, v103, v41
	v_mul_f16_e32 v79, 0x3a52, v79
	v_mul_f16_e32 v95, 0xb846, v104
	;; [unrolled: 1-line block ×3, first 2 shown]
	v_add_f16_e32 v102, v77, v108
	v_add_f16_e32 v103, v96, v109
	;; [unrolled: 1-line block ×3, first 2 shown]
	v_fmamk_f16 v89, v116, 0x2b26, v88
	v_fma_f16 v91, v106, 0x39e0, -v91
	v_fma_f16 v88, v106, 0xb9e0, -v88
	v_fmamk_f16 v106, v42, 0x3574, v94
	v_fma_f16 v44, v44, 0x3b00, -v94
	v_fma_f16 v42, v42, 0xb574, -v97
	v_mul_f16_e32 v76, 0x3a52, v76
	v_mul_f16_e32 v93, 0x2b26, v78
	;; [unrolled: 1-line block ×5, first 2 shown]
	v_sub_f16_e32 v104, v77, v108
	v_sub_f16_e32 v107, v96, v109
	;; [unrolled: 1-line block ×5, first 2 shown]
	v_add_f16_e32 v110, v30, v32
	v_sub_f16_e32 v114, v30, v32
	v_sub_f16_e32 v115, v37, v35
	v_sub_f16_e32 v32, v32, v39
	v_fmamk_f16 v85, v85, 0xbcab, v28
	v_fmamk_f16 v86, v86, 0xbcab, v62
	v_fmac_f16_e32 v105, 0x370e, v29
	v_fmac_f16_e32 v31, 0x370e, v29
	;; [unrolled: 1-line block ×3, first 2 shown]
	v_add_f16_e32 v29, v75, v80
	v_add_f16_e32 v21, v21, v84
	v_sub_f16_e32 v77, v81, v77
	v_add_f16_e32 v111, v37, v35
	v_sub_f16_e32 v35, v35, v69
	v_pack_b32_f16 v28, v28, v62
	v_fmamk_f16 v62, v82, 0x2b26, v79
	v_fmamk_f16 v82, v36, 0x3574, v95
	v_fma_f16 v34, v34, 0x3b00, -v95
	v_fma_f16 v36, v36, 0xb574, -v98
	v_add_f16_e32 v81, v81, v102
	v_add_f16_e32 v92, v92, v103
	v_sub_f16_e32 v30, v39, v30
	v_sub_f16_e32 v37, v69, v37
	v_fmac_f16_e32 v106, 0x370e, v40
	v_fmac_f16_e32 v44, 0x370e, v40
	;; [unrolled: 1-line block ×3, first 2 shown]
	v_fmamk_f16 v40, v78, 0x2b26, v76
	v_fma_f16 v75, v100, 0x39e0, -v93
	v_fma_f16 v78, v101, 0x39e0, -v94
	;; [unrolled: 1-line block ×4, first 2 shown]
	v_fmamk_f16 v93, v43, 0x3574, v97
	v_fma_f16 v45, v45, 0x3b00, -v97
	v_fma_f16 v43, v43, 0xb574, -v99
	v_mul_f16_e32 v94, 0x3a52, v108
	v_mul_f16_e32 v95, 0x3a52, v109
	;; [unrolled: 1-line block ×6, first 2 shown]
	v_add_f16_e32 v83, v83, v85
	v_add_f16_e32 v89, v89, v86
	;; [unrolled: 1-line block ×6, first 2 shown]
	v_fmamk_f16 v80, v80, 0xbcab, v29
	v_fmamk_f16 v84, v84, 0xbcab, v21
	v_mul_f16_e32 v97, 0x2b26, v77
	v_mul_f16_e32 v102, 0x3b00, v35
	v_fmac_f16_e32 v82, 0x370e, v38
	v_fmac_f16_e32 v34, 0x370e, v38
	;; [unrolled: 1-line block ×3, first 2 shown]
	v_add_f16_e32 v38, v70, v81
	v_add_f16_e32 v20, v20, v92
	v_fmac_f16_e32 v93, 0x370e, v41
	v_fmac_f16_e32 v45, 0x370e, v41
	;; [unrolled: 1-line block ×3, first 2 shown]
	v_fmamk_f16 v41, v77, 0x2b26, v94
	v_fmamk_f16 v70, v96, 0x2b26, v95
	v_fma_f16 v87, v107, 0x39e0, -v98
	v_fma_f16 v88, v104, 0xb9e0, -v94
	;; [unrolled: 1-line block ×3, first 2 shown]
	v_fmamk_f16 v95, v30, 0x3574, v99
	v_fmamk_f16 v96, v37, 0x3574, v100
	v_fma_f16 v32, v32, 0x3b00, -v99
	v_fma_f16 v35, v35, 0x3b00, -v100
	;; [unrolled: 1-line block ×3, first 2 shown]
	v_pack_b32_f16 v21, v29, v21
	v_add_f16_e32 v29, v106, v83
	v_add_f16_e32 v98, v42, v85
	v_sub_f16_e32 v99, v86, v33
	v_sub_f16_e32 v100, v90, v44
	v_add_f16_e32 v101, v31, v91
	v_add_f16_e32 v44, v44, v90
	v_sub_f16_e32 v31, v91, v31
	v_sub_f16_e32 v42, v85, v42
	v_add_f16_e32 v33, v33, v86
	v_sub_f16_e32 v83, v83, v106
	v_add_f16_e32 v85, v105, v89
	v_add_f16_e32 v40, v40, v80
	;; [unrolled: 1-line block ×5, first 2 shown]
	v_fma_f16 v77, v104, 0x39e0, -v97
	v_fma_f16 v37, v37, 0xb574, -v102
	v_sub_f16_e32 v97, v89, v105
	v_add_f16_e32 v75, v75, v80
	v_add_f16_e32 v78, v78, v84
	;; [unrolled: 1-line block ×4, first 2 shown]
	v_fmamk_f16 v80, v81, 0xbcab, v38
	v_fmamk_f16 v81, v92, 0xbcab, v20
	v_pack_b32_f16 v31, v44, v31
	v_pack_b32_f16 v33, v42, v33
	;; [unrolled: 1-line block ×3, first 2 shown]
	v_add_f16_e32 v44, v93, v40
	v_sub_f16_e32 v83, v62, v82
	v_fmac_f16_e32 v32, 0x370e, v39
	v_fmac_f16_e32 v35, 0x370e, v69
	;; [unrolled: 1-line block ×3, first 2 shown]
	v_pack_b32_f16 v29, v29, v97
	v_add_f16_e32 v84, v43, v76
	v_sub_f16_e32 v85, v79, v36
	v_sub_f16_e32 v86, v75, v45
	v_add_f16_e32 v89, v34, v78
	v_add_f16_e32 v45, v45, v75
	v_sub_f16_e32 v43, v76, v43
	v_add_f16_e32 v75, v77, v80
	v_add_f16_e32 v76, v87, v81
	;; [unrolled: 1-line block ×3, first 2 shown]
	v_fmac_f16_e32 v95, 0x370e, v39
	v_fmac_f16_e32 v96, 0x370e, v69
	;; [unrolled: 1-line block ×3, first 2 shown]
	v_pack_b32_f16 v39, v98, v99
	v_pack_b32_f16 v69, v100, v101
	v_sub_f16_e32 v34, v78, v34
	v_add_f16_e32 v36, v36, v79
	v_add_f16_e32 v41, v41, v80
	;; [unrolled: 1-line block ×4, first 2 shown]
	v_pack_b32_f16 v44, v44, v83
	v_sub_f16_e32 v40, v40, v93
	v_add_f16_e32 v62, v82, v62
	ds_store_2addr_b32 v13, v28, v29 offset1:216
	ds_store_2addr_b32 v112, v39, v69 offset0:16 offset1:232
	v_add_f16_e32 v39, v37, v77
	v_sub_f16_e32 v79, v75, v35
	v_add_f16_e32 v80, v32, v76
	v_add_f16_e32 v35, v35, v75
	v_sub_f16_e32 v32, v76, v32
	v_sub_f16_e32 v37, v77, v37
	v_pack_b32_f16 v75, v84, v85
	v_pack_b32_f16 v76, v86, v89
	v_add_nc_u32_e32 v77, 0x680, v53
	v_add_f16_e32 v28, v96, v41
	v_sub_f16_e32 v29, v70, v95
	v_pack_b32_f16 v34, v45, v34
	v_pack_b32_f16 v36, v43, v36
	v_add_nc_u32_e32 v43, 0xd00, v53
	v_sub_f16_e32 v69, v78, v30
	ds_store_2addr_b32 v113, v31, v33 offset0:32 offset1:248
	ds_store_b32 v13, v42 offset:5184
	ds_store_2addr_b32 v53, v21, v44 offset1:216
	ds_store_2addr_b32 v77, v75, v76 offset0:16 offset1:232
	ds_store_2addr_b32 v43, v34, v36 offset0:32 offset1:248
	v_add_nc_u32_e32 v21, v61, v68
	v_add_f16_e32 v30, v30, v78
	v_sub_f16_e32 v41, v41, v96
	v_add_f16_e32 v70, v95, v70
	v_pack_b32_f16 v31, v40, v62
	v_pack_b32_f16 v20, v38, v20
	v_pack_b32_f16 v28, v28, v29
	v_pack_b32_f16 v29, v39, v69
	v_pack_b32_f16 v33, v79, v80
	v_add_nc_u32_e32 v34, 0x680, v21
	v_pack_b32_f16 v32, v35, v32
	v_pack_b32_f16 v30, v37, v30
	v_add_nc_u32_e32 v35, 0xd00, v21
	v_pack_b32_f16 v36, v41, v70
	ds_store_b32 v53, v31 offset:5184
	ds_store_2addr_b32 v21, v20, v28 offset1:216
	ds_store_2addr_b32 v34, v29, v33 offset0:16 offset1:232
	ds_store_2addr_b32 v35, v32, v30 offset0:32 offset1:248
	ds_store_b32 v21, v36 offset:5184
	s_and_saveexec_b32 s1, s0
	s_cbranch_execz .LBB0_17
; %bb.16:
	v_subrev_nc_u32_e32 v20, 27, v3
	v_dual_mov_b32 v29, 0 :: v_dual_add_nc_u32 v34, 0x980, v13
	v_add_nc_u32_e32 v35, 0x1000, v13
	s_delay_alu instid0(VALU_DEP_3) | instskip(NEXT) | instid1(VALU_DEP_1)
	v_cndmask_b32_e64 v20, v20, v18, s0
	v_mul_i32_i24_e32 v28, 6, v20
	v_add_nc_u32_e32 v20, 0x280, v13
	s_delay_alu instid0(VALU_DEP_2) | instskip(NEXT) | instid1(VALU_DEP_1)
	v_lshlrev_b64_e32 v[28:29], 2, v[28:29]
	v_add_co_u32 v32, s0, s8, v28
	s_wait_alu 0xf1ff
	s_delay_alu instid0(VALU_DEP_2)
	v_add_co_ci_u32_e64 v33, s0, s9, v29, s0
	s_clause 0x1
	global_load_b128 v[28:31], v[32:33], off offset:856
	global_load_b64 v[32:33], v[32:33], off offset:872
	s_wait_loadcnt 0x1
	v_lshrrev_b32_e32 v36, 16, v28
	v_lshrrev_b32_e32 v37, 16, v29
	s_wait_loadcnt 0x0
	v_lshrrev_b32_e32 v38, 16, v33
	v_lshrrev_b32_e32 v41, 16, v32
	;; [unrolled: 1-line block ×4, first 2 shown]
	v_mul_f16_e32 v42, v74, v36
	v_mul_f16_e32 v43, v67, v38
	;; [unrolled: 1-line block ×12, first 2 shown]
	v_fma_f16 v22, v22, v28, -v42
	v_fma_f16 v27, v27, v33, -v43
	;; [unrolled: 1-line block ×4, first 2 shown]
	v_fmac_f16_e32 v38, v67, v33
	v_fmac_f16_e32 v36, v74, v28
	v_fmac_f16_e32 v41, v65, v32
	v_fmac_f16_e32 v37, v71, v29
	v_fma_f16 v25, v25, v31, -v44
	v_fma_f16 v24, v24, v30, -v45
	v_fmac_f16_e32 v40, v66, v30
	v_fmac_f16_e32 v39, v64, v31
	v_sub_f16_e32 v28, v22, v27
	v_sub_f16_e32 v30, v23, v26
	v_add_f16_e32 v31, v36, v38
	v_add_f16_e32 v33, v37, v41
	;; [unrolled: 1-line block ×4, first 2 shown]
	v_sub_f16_e32 v29, v25, v24
	v_add_f16_e32 v32, v40, v39
	v_add_f16_e32 v24, v24, v25
	v_sub_f16_e32 v25, v36, v38
	v_sub_f16_e32 v26, v39, v40
	;; [unrolled: 1-line block ×3, first 2 shown]
	v_add_f16_e32 v40, v33, v31
	v_add_f16_e32 v43, v23, v22
	v_sub_f16_e32 v36, v28, v29
	v_sub_f16_e32 v37, v29, v30
	v_add_f16_e32 v29, v29, v30
	v_sub_f16_e32 v38, v31, v32
	v_sub_f16_e32 v39, v32, v33
	;; [unrolled: 1-line block ×6, first 2 shown]
	v_add_f16_e32 v26, v26, v27
	v_sub_f16_e32 v30, v30, v28
	v_add_f16_e32 v32, v32, v40
	v_add_f16_e32 v24, v24, v43
	v_sub_f16_e32 v22, v23, v22
	v_sub_f16_e32 v23, v27, v25
	;; [unrolled: 1-line block ×3, first 2 shown]
	v_mul_f16_e32 v27, 0xb846, v37
	v_add_f16_e32 v28, v29, v28
	v_mul_f16_e32 v29, 0x3a52, v38
	v_mul_f16_e32 v37, 0x3a52, v41
	;; [unrolled: 1-line block ×3, first 2 shown]
	v_add_f16_e32 v25, v26, v25
	v_mul_f16_e32 v26, 0x3b00, v30
	v_add_f16_e32 v45, v73, v32
	v_add_f16_e32 v61, v72, v24
	v_mul_f16_e32 v33, 0x2b26, v39
	v_mul_f16_e32 v38, 0x2b26, v42
	;; [unrolled: 1-line block ×3, first 2 shown]
	v_fmamk_f16 v43, v36, 0x3574, v27
	v_fmamk_f16 v39, v39, 0x2b26, v29
	;; [unrolled: 1-line block ×4, first 2 shown]
	v_fma_f16 v26, v36, 0xb574, -v26
	v_fma_f16 v29, v31, 0xb9e0, -v29
	;; [unrolled: 1-line block ×3, first 2 shown]
	v_fmamk_f16 v30, v32, 0xbcab, v45
	v_fmamk_f16 v24, v24, 0xbcab, v61
	v_fma_f16 v36, v22, 0xb9e0, -v37
	v_fma_f16 v37, v44, 0xb574, -v41
	;; [unrolled: 1-line block ×5, first 2 shown]
	v_fmac_f16_e32 v43, 0x370e, v28
	v_fmac_f16_e32 v62, 0x370e, v25
	;; [unrolled: 1-line block ×4, first 2 shown]
	v_add_f16_e32 v28, v39, v30
	v_add_f16_e32 v32, v42, v24
	;; [unrolled: 1-line block ×3, first 2 shown]
	v_fmac_f16_e32 v37, 0x370e, v25
	v_fmac_f16_e32 v23, 0x370e, v25
	v_add_f16_e32 v33, v36, v24
	v_add_f16_e32 v30, v31, v30
	;; [unrolled: 1-line block ×5, first 2 shown]
	v_sub_f16_e32 v26, v29, v26
	v_sub_f16_e32 v28, v28, v43
	v_add_f16_e32 v29, v62, v32
	v_sub_f16_e32 v31, v32, v62
	v_sub_f16_e32 v38, v30, v27
	v_add_f16_e32 v27, v27, v30
	v_add_f16_e32 v30, v37, v33
	v_sub_f16_e32 v32, v22, v23
	v_add_f16_e32 v22, v23, v22
	v_sub_f16_e32 v23, v33, v37
	v_pack_b32_f16 v25, v61, v45
	v_pack_b32_f16 v28, v29, v28
	;; [unrolled: 1-line block ×7, first 2 shown]
	ds_store_2addr_b32 v20, v25, v28 offset0:29 offset1:245
	ds_store_2addr_b32 v34, v26, v27 offset0:13 offset1:229
	;; [unrolled: 1-line block ×3, first 2 shown]
	ds_store_b32 v13, v24 offset:5940
.LBB0_17:
	s_wait_alu 0xfffe
	s_or_b32 exec_lo, exec_lo, s1
	global_wb scope:SCOPE_SE
	s_wait_dscnt 0x0
	s_barrier_signal -1
	s_barrier_wait -1
	global_inv scope:SCOPE_SE
	ds_load_b32 v20, v13
	v_sub_nc_u32_e32 v22, 0, v4
	s_mov_b32 s1, exec_lo
                                        ; implicit-def: $vgpr32
                                        ; implicit-def: $vgpr31
                                        ; implicit-def: $vgpr30
	s_wait_dscnt 0x0
	v_lshrrev_b32_e32 v33, 16, v20
	v_cmpx_ne_u32_e32 0, v3
	s_wait_alu 0xfffe
	s_xor_b32 s1, exec_lo, s1
	s_cbranch_execz .LBB0_19
; %bb.18:
	v_mov_b32_e32 v4, 0
	s_delay_alu instid0(VALU_DEP_1) | instskip(NEXT) | instid1(VALU_DEP_1)
	v_lshlrev_b64_e32 v[23:24], 2, v[3:4]
	v_add_co_u32 v23, s0, s8, v23
	s_wait_alu 0xf1ff
	s_delay_alu instid0(VALU_DEP_2)
	v_add_co_ci_u32_e64 v24, s0, s9, v24, s0
	global_load_b32 v4, v[23:24], off offset:6040
	ds_load_b32 v23, v22 offset:6048
	s_wait_dscnt 0x0
	v_lshrrev_b32_e32 v24, 16, v23
	v_sub_f16_e32 v25, v20, v23
	v_add_f16_e32 v20, v23, v20
	s_delay_alu instid0(VALU_DEP_3) | instskip(NEXT) | instid1(VALU_DEP_3)
	v_add_f16_e32 v26, v24, v33
	v_mul_f16_e32 v25, 0.5, v25
	v_sub_f16_e32 v24, v33, v24
                                        ; implicit-def: $vgpr33
	s_delay_alu instid0(VALU_DEP_3) | instskip(NEXT) | instid1(VALU_DEP_2)
	v_mul_f16_e32 v23, 0.5, v26
	v_mul_f16_e32 v24, 0.5, v24
	s_wait_loadcnt 0x0
	v_lshrrev_b32_e32 v27, 16, v4
	s_delay_alu instid0(VALU_DEP_1) | instskip(NEXT) | instid1(VALU_DEP_3)
	v_mul_f16_e32 v26, v27, v25
	v_fma_f16 v28, v23, v27, v24
	v_fma_f16 v24, v23, v27, -v24
	s_delay_alu instid0(VALU_DEP_3) | instskip(SKIP_1) | instid1(VALU_DEP_4)
	v_fma_f16 v29, 0.5, v20, v26
	v_fma_f16 v20, v20, 0.5, -v26
	v_fma_f16 v30, -v4, v25, v28
	s_delay_alu instid0(VALU_DEP_4) | instskip(NEXT) | instid1(VALU_DEP_4)
	v_fma_f16 v32, -v4, v25, v24
	v_fmac_f16_e32 v29, v4, v23
	s_delay_alu instid0(VALU_DEP_4)
	v_fma_f16 v31, -v4, v23, v20
                                        ; implicit-def: $vgpr20
	ds_store_b16 v13, v29
.LBB0_19:
	s_wait_alu 0xfffe
	s_or_saveexec_b32 s0, s1
	v_sub_nc_u32_e32 v29, 0, v6
	v_sub_nc_u32_e32 v28, 0, v54
	;; [unrolled: 1-line block ×8, first 2 shown]
	s_wait_alu 0xfffe
	s_xor_b32 exec_lo, exec_lo, s0
	s_cbranch_execz .LBB0_21
; %bb.20:
	v_mov_b32_e32 v30, 0
	v_add_f16_e32 v34, v33, v20
	v_sub_f16_e32 v31, v20, v33
	v_mov_b32_e32 v32, 0
	ds_load_u16 v6, v30 offset:3026
	s_wait_dscnt 0x0
	v_xor_b32_e32 v6, 0x8000, v6
	ds_store_b16 v13, v34
	ds_store_b16 v30, v6 offset:3026
.LBB0_21:
	s_or_b32 exec_lo, exec_lo, s0
	v_mov_b32_e32 v6, 0
	v_perm_b32 v31, v32, v31, 0x5040100
	ds_store_b16 v13, v30 offset:2
	v_add_nc_u32_e32 v0, v0, v4
	v_lshlrev_b64_e32 v[33:34], 2, v[5:6]
	v_mov_b32_e32 v20, v6
	ds_store_b32 v22, v31 offset:6048
	v_mov_b32_e32 v13, v6
	v_add_co_u32 v33, s0, s8, v33
	s_wait_alu 0xf1ff
	v_add_co_ci_u32_e64 v34, s0, s9, v34, s0
	v_lshlrev_b64_e32 v[19:20], 2, v[19:20]
	v_lshlrev_b64_e32 v[12:13], 2, v[12:13]
	global_load_b32 v5, v[33:34], off offset:6040
	v_add_co_u32 v19, s0, s8, v19
	s_wait_alu 0xf1ff
	v_add_co_ci_u32_e64 v20, s0, s9, v20, s0
	global_load_b32 v20, v[19:20], off offset:6040
	v_mov_b32_e32 v19, v6
	s_delay_alu instid0(VALU_DEP_1) | instskip(NEXT) | instid1(VALU_DEP_1)
	v_lshlrev_b64_e32 v[18:19], 2, v[18:19]
	v_add_co_u32 v18, s0, s8, v18
	s_wait_alu 0xf1ff
	s_delay_alu instid0(VALU_DEP_2) | instskip(SKIP_2) | instid1(VALU_DEP_1)
	v_add_co_ci_u32_e64 v19, s0, s9, v19, s0
	global_load_b32 v19, v[18:19], off offset:6040
	v_mov_b32_e32 v18, v6
	v_lshlrev_b64_e32 v[17:18], 2, v[17:18]
	s_delay_alu instid0(VALU_DEP_1) | instskip(SKIP_1) | instid1(VALU_DEP_2)
	v_add_co_u32 v17, s0, s8, v17
	s_wait_alu 0xf1ff
	v_add_co_ci_u32_e64 v18, s0, s9, v18, s0
	global_load_b32 v18, v[17:18], off offset:6040
	v_mov_b32_e32 v17, v6
	s_delay_alu instid0(VALU_DEP_1) | instskip(NEXT) | instid1(VALU_DEP_1)
	v_lshlrev_b64_e32 v[16:17], 2, v[16:17]
	v_add_co_u32 v16, s0, s8, v16
	s_wait_alu 0xf1ff
	s_delay_alu instid0(VALU_DEP_2)
	v_add_co_ci_u32_e64 v17, s0, s9, v17, s0
	global_load_b32 v17, v[16:17], off offset:6040
	v_mov_b32_e32 v16, v6
	ds_load_b32 v30, v53
	ds_load_b32 v31, v22 offset:5796
	v_lshlrev_b64_e32 v[15:16], 2, v[15:16]
	s_delay_alu instid0(VALU_DEP_1) | instskip(SKIP_1) | instid1(VALU_DEP_2)
	v_add_co_u32 v15, s0, s8, v15
	s_wait_alu 0xf1ff
	v_add_co_ci_u32_e64 v16, s0, s9, v16, s0
	v_add_co_u32 v12, s0, s8, v12
	s_wait_alu 0xf1ff
	v_add_co_ci_u32_e64 v13, s0, s9, v13, s0
	global_load_b32 v16, v[15:16], off offset:6040
	v_mov_b32_e32 v15, v6
	s_wait_dscnt 0x0
	v_pk_add_f16 v32, v30, v31 neg_lo:[0,1] neg_hi:[0,1]
	v_pk_add_f16 v30, v30, v31
	s_delay_alu instid0(VALU_DEP_3) | instskip(NEXT) | instid1(VALU_DEP_2)
	v_lshlrev_b64_e32 v[14:15], 2, v[14:15]
	v_bfi_b32 v31, 0xffff, v32, v30
	v_bfi_b32 v30, 0xffff, v30, v32
	s_delay_alu instid0(VALU_DEP_3) | instskip(NEXT) | instid1(VALU_DEP_3)
	v_add_co_u32 v14, s0, s8, v14
	v_pk_mul_f16 v31, v31, 0.5 op_sel_hi:[1,0]
	s_delay_alu instid0(VALU_DEP_3)
	v_pk_mul_f16 v30, v30, 0.5 op_sel_hi:[1,0]
	s_wait_alu 0xf1ff
	v_add_co_ci_u32_e64 v15, s0, s9, v15, s0
	s_clause 0x1
	global_load_b32 v13, v[12:13], off offset:6040
	global_load_b32 v14, v[14:15], off offset:6040
	s_wait_loadcnt 0x7
	v_pk_fma_f16 v12, v5, v31, v30 op_sel:[1,0,0]
	v_pk_mul_f16 v15, v5, v31 op_sel_hi:[0,1]
	v_pk_fma_f16 v32, v5, v31, v30 op_sel:[1,0,0] neg_lo:[1,0,0] neg_hi:[1,0,0]
	v_pk_fma_f16 v5, v5, v31, v30 op_sel:[1,0,0] neg_lo:[0,0,1] neg_hi:[0,0,1]
	s_delay_alu instid0(VALU_DEP_3) | instskip(SKIP_1) | instid1(VALU_DEP_4)
	v_pk_add_f16 v30, v12, v15 op_sel:[0,1] op_sel_hi:[1,0]
	v_pk_add_f16 v12, v12, v15 op_sel:[0,1] op_sel_hi:[1,0] neg_lo:[0,1] neg_hi:[0,1]
	v_pk_add_f16 v31, v32, v15 op_sel:[0,1] op_sel_hi:[1,0] neg_lo:[0,1] neg_hi:[0,1]
	s_delay_alu instid0(VALU_DEP_4) | instskip(NEXT) | instid1(VALU_DEP_3)
	v_pk_add_f16 v5, v5, v15 op_sel:[0,1] op_sel_hi:[1,0] neg_lo:[0,1] neg_hi:[0,1]
	v_bfi_b32 v12, 0xffff, v30, v12
	s_delay_alu instid0(VALU_DEP_2)
	v_bfi_b32 v5, 0xffff, v31, v5
	ds_store_b32 v53, v12
	ds_store_b32 v22, v5 offset:5796
	ds_load_b32 v5, v21
	ds_load_b32 v12, v22 offset:5544
	s_wait_dscnt 0x0
	v_pk_add_f16 v15, v5, v12 neg_lo:[0,1] neg_hi:[0,1]
	v_pk_add_f16 v5, v5, v12
	s_delay_alu instid0(VALU_DEP_1) | instskip(SKIP_1) | instid1(VALU_DEP_2)
	v_bfi_b32 v12, 0xffff, v15, v5
	v_bfi_b32 v5, 0xffff, v5, v15
	v_pk_mul_f16 v12, v12, 0.5 op_sel_hi:[1,0]
	s_delay_alu instid0(VALU_DEP_2) | instskip(SKIP_1) | instid1(VALU_DEP_2)
	v_pk_mul_f16 v5, v5, 0.5 op_sel_hi:[1,0]
	s_wait_loadcnt 0x6
	v_pk_mul_f16 v30, v20, v12 op_sel_hi:[0,1]
	s_delay_alu instid0(VALU_DEP_2) | instskip(SKIP_2) | instid1(VALU_DEP_3)
	v_pk_fma_f16 v15, v20, v12, v5 op_sel:[1,0,0]
	v_pk_fma_f16 v31, v20, v12, v5 op_sel:[1,0,0] neg_lo:[1,0,0] neg_hi:[1,0,0]
	v_pk_fma_f16 v5, v20, v12, v5 op_sel:[1,0,0] neg_lo:[0,0,1] neg_hi:[0,0,1]
	v_pk_add_f16 v12, v15, v30 op_sel:[0,1] op_sel_hi:[1,0]
	v_pk_add_f16 v15, v15, v30 op_sel:[0,1] op_sel_hi:[1,0] neg_lo:[0,1] neg_hi:[0,1]
	s_delay_alu instid0(VALU_DEP_4) | instskip(NEXT) | instid1(VALU_DEP_4)
	v_pk_add_f16 v20, v31, v30 op_sel:[0,1] op_sel_hi:[1,0] neg_lo:[0,1] neg_hi:[0,1]
	v_pk_add_f16 v5, v5, v30 op_sel:[0,1] op_sel_hi:[1,0] neg_lo:[0,1] neg_hi:[0,1]
	s_delay_alu instid0(VALU_DEP_3) | instskip(NEXT) | instid1(VALU_DEP_2)
	v_bfi_b32 v12, 0xffff, v12, v15
	v_bfi_b32 v5, 0xffff, v20, v5
	ds_store_b32 v21, v12
	ds_store_b32 v22, v5 offset:5544
	ds_load_b32 v5, v63
	ds_load_b32 v12, v22 offset:5292
	s_wait_dscnt 0x0
	v_pk_add_f16 v15, v5, v12 neg_lo:[0,1] neg_hi:[0,1]
	v_pk_add_f16 v5, v5, v12
	s_delay_alu instid0(VALU_DEP_1) | instskip(SKIP_1) | instid1(VALU_DEP_2)
	v_bfi_b32 v12, 0xffff, v15, v5
	v_bfi_b32 v5, 0xffff, v5, v15
	v_pk_mul_f16 v12, v12, 0.5 op_sel_hi:[1,0]
	s_delay_alu instid0(VALU_DEP_2) | instskip(SKIP_1) | instid1(VALU_DEP_2)
	v_pk_mul_f16 v5, v5, 0.5 op_sel_hi:[1,0]
	s_wait_loadcnt 0x5
	v_pk_mul_f16 v20, v19, v12 op_sel_hi:[0,1]
	s_delay_alu instid0(VALU_DEP_2) | instskip(SKIP_2) | instid1(VALU_DEP_3)
	v_pk_fma_f16 v15, v19, v12, v5 op_sel:[1,0,0]
	v_pk_fma_f16 v21, v19, v12, v5 op_sel:[1,0,0] neg_lo:[1,0,0] neg_hi:[1,0,0]
	v_pk_fma_f16 v5, v19, v12, v5 op_sel:[1,0,0] neg_lo:[0,0,1] neg_hi:[0,0,1]
	v_pk_add_f16 v19, v15, v20 op_sel:[0,1] op_sel_hi:[1,0]
	v_pk_add_f16 v15, v15, v20 op_sel:[0,1] op_sel_hi:[1,0] neg_lo:[0,1] neg_hi:[0,1]
	s_delay_alu instid0(VALU_DEP_4) | instskip(NEXT) | instid1(VALU_DEP_4)
	v_pk_add_f16 v21, v21, v20 op_sel:[0,1] op_sel_hi:[1,0] neg_lo:[0,1] neg_hi:[0,1]
	v_pk_add_f16 v5, v5, v20 op_sel:[0,1] op_sel_hi:[1,0] neg_lo:[0,1] neg_hi:[0,1]
	s_delay_alu instid0(VALU_DEP_3) | instskip(SKIP_1) | instid1(VALU_DEP_3)
	v_bfi_b32 v15, 0xffff, v19, v15
	v_dual_mov_b32 v12, v6 :: v_dual_add_nc_u32 v19, v52, v29
	v_bfi_b32 v5, 0xffff, v21, v5
	ds_store_b32 v63, v15
	ds_store_b32 v22, v5 offset:5292
	v_lshlrev_b64_e32 v[11:12], 2, v[11:12]
	ds_load_b32 v5, v19
	ds_load_b32 v15, v22 offset:5040
	v_add_co_u32 v11, s0, s8, v11
	s_wait_alu 0xf1ff
	v_add_co_ci_u32_e64 v12, s0, s9, v12, s0
	global_load_b32 v12, v[11:12], off offset:6040
	s_wait_dscnt 0x0
	v_pk_add_f16 v11, v5, v15 neg_lo:[0,1] neg_hi:[0,1]
	v_pk_add_f16 v5, v5, v15
	s_delay_alu instid0(VALU_DEP_1) | instskip(SKIP_1) | instid1(VALU_DEP_2)
	v_bfi_b32 v15, 0xffff, v11, v5
	v_bfi_b32 v5, 0xffff, v5, v11
	v_pk_mul_f16 v11, v15, 0.5 op_sel_hi:[1,0]
	s_delay_alu instid0(VALU_DEP_2) | instskip(SKIP_1) | instid1(VALU_DEP_2)
	v_pk_mul_f16 v5, v5, 0.5 op_sel_hi:[1,0]
	s_wait_loadcnt 0x5
	v_pk_mul_f16 v20, v18, v11 op_sel_hi:[0,1]
	s_delay_alu instid0(VALU_DEP_2) | instskip(SKIP_3) | instid1(VALU_DEP_4)
	v_pk_fma_f16 v15, v18, v11, v5 op_sel:[1,0,0]
	v_pk_fma_f16 v21, v18, v11, v5 op_sel:[1,0,0] neg_lo:[1,0,0] neg_hi:[1,0,0]
	v_pk_fma_f16 v5, v18, v11, v5 op_sel:[1,0,0] neg_lo:[0,0,1] neg_hi:[0,0,1]
	v_mov_b32_e32 v11, v6
	v_pk_add_f16 v18, v15, v20 op_sel:[0,1] op_sel_hi:[1,0]
	v_pk_add_f16 v15, v15, v20 op_sel:[0,1] op_sel_hi:[1,0] neg_lo:[0,1] neg_hi:[0,1]
	v_pk_add_f16 v21, v21, v20 op_sel:[0,1] op_sel_hi:[1,0] neg_lo:[0,1] neg_hi:[0,1]
	;; [unrolled: 1-line block ×3, first 2 shown]
	s_delay_alu instid0(VALU_DEP_3) | instskip(SKIP_2) | instid1(VALU_DEP_4)
	v_bfi_b32 v15, 0xffff, v18, v15
	v_add_nc_u32_e32 v18, v51, v28
	v_lshlrev_b64_e32 v[10:11], 2, v[10:11]
	v_bfi_b32 v5, 0xffff, v21, v5
	ds_store_b32 v19, v15
	ds_store_b32 v22, v5 offset:5040
	v_add_co_u32 v10, s0, s8, v10
	s_wait_alu 0xf1ff
	v_add_co_ci_u32_e64 v11, s0, s9, v11, s0
	ds_load_b32 v5, v18
	ds_load_b32 v15, v22 offset:4788
	global_load_b32 v11, v[10:11], off offset:6040
	s_wait_dscnt 0x0
	v_pk_add_f16 v10, v5, v15 neg_lo:[0,1] neg_hi:[0,1]
	v_pk_add_f16 v5, v5, v15
	s_delay_alu instid0(VALU_DEP_1) | instskip(SKIP_1) | instid1(VALU_DEP_2)
	v_bfi_b32 v15, 0xffff, v10, v5
	v_bfi_b32 v5, 0xffff, v5, v10
	v_pk_mul_f16 v10, v15, 0.5 op_sel_hi:[1,0]
	s_delay_alu instid0(VALU_DEP_2) | instskip(SKIP_1) | instid1(VALU_DEP_2)
	v_pk_mul_f16 v5, v5, 0.5 op_sel_hi:[1,0]
	s_wait_loadcnt 0x5
	v_pk_mul_f16 v19, v17, v10 op_sel_hi:[0,1]
	s_delay_alu instid0(VALU_DEP_2) | instskip(SKIP_3) | instid1(VALU_DEP_4)
	v_pk_fma_f16 v15, v17, v10, v5 op_sel:[1,0,0]
	v_pk_fma_f16 v20, v17, v10, v5 op_sel:[1,0,0] neg_lo:[1,0,0] neg_hi:[1,0,0]
	v_pk_fma_f16 v5, v17, v10, v5 op_sel:[1,0,0] neg_lo:[0,0,1] neg_hi:[0,0,1]
	v_mov_b32_e32 v10, v6
	v_pk_add_f16 v17, v15, v19 op_sel:[0,1] op_sel_hi:[1,0]
	v_pk_add_f16 v15, v15, v19 op_sel:[0,1] op_sel_hi:[1,0] neg_lo:[0,1] neg_hi:[0,1]
	v_pk_add_f16 v20, v20, v19 op_sel:[0,1] op_sel_hi:[1,0] neg_lo:[0,1] neg_hi:[0,1]
	s_delay_alu instid0(VALU_DEP_4) | instskip(SKIP_1) | instid1(VALU_DEP_4)
	v_lshlrev_b64_e32 v[9:10], 2, v[9:10]
	v_pk_add_f16 v5, v5, v19 op_sel:[0,1] op_sel_hi:[1,0] neg_lo:[0,1] neg_hi:[0,1]
	v_bfi_b32 v15, 0xffff, v17, v15
	v_add_nc_u32_e32 v17, v50, v27
	s_delay_alu instid0(VALU_DEP_4) | instskip(NEXT) | instid1(VALU_DEP_4)
	v_add_co_u32 v9, s0, s8, v9
	v_bfi_b32 v5, 0xffff, v20, v5
	s_wait_alu 0xf1ff
	v_add_co_ci_u32_e64 v10, s0, s9, v10, s0
	ds_store_b32 v18, v15
	ds_store_b32 v22, v5 offset:4788
	ds_load_b32 v5, v17
	ds_load_b32 v15, v22 offset:4536
	global_load_b32 v9, v[9:10], off offset:6040
	s_wait_dscnt 0x0
	v_pk_add_f16 v10, v5, v15 neg_lo:[0,1] neg_hi:[0,1]
	v_pk_add_f16 v5, v5, v15
	s_delay_alu instid0(VALU_DEP_1) | instskip(SKIP_1) | instid1(VALU_DEP_2)
	v_bfi_b32 v15, 0xffff, v10, v5
	v_bfi_b32 v5, 0xffff, v5, v10
	v_pk_mul_f16 v10, v15, 0.5 op_sel_hi:[1,0]
	s_delay_alu instid0(VALU_DEP_2) | instskip(SKIP_1) | instid1(VALU_DEP_2)
	v_pk_mul_f16 v5, v5, 0.5 op_sel_hi:[1,0]
	s_wait_loadcnt 0x5
	v_pk_mul_f16 v18, v16, v10 op_sel_hi:[0,1]
	s_delay_alu instid0(VALU_DEP_2) | instskip(SKIP_2) | instid1(VALU_DEP_3)
	v_pk_fma_f16 v15, v16, v10, v5 op_sel:[1,0,0]
	v_pk_fma_f16 v19, v16, v10, v5 op_sel:[1,0,0] neg_lo:[1,0,0] neg_hi:[1,0,0]
	v_pk_fma_f16 v5, v16, v10, v5 op_sel:[1,0,0] neg_lo:[0,0,1] neg_hi:[0,0,1]
	v_pk_add_f16 v10, v15, v18 op_sel:[0,1] op_sel_hi:[1,0]
	v_pk_add_f16 v15, v15, v18 op_sel:[0,1] op_sel_hi:[1,0] neg_lo:[0,1] neg_hi:[0,1]
	s_delay_alu instid0(VALU_DEP_4) | instskip(NEXT) | instid1(VALU_DEP_4)
	v_pk_add_f16 v16, v19, v18 op_sel:[0,1] op_sel_hi:[1,0] neg_lo:[0,1] neg_hi:[0,1]
	v_pk_add_f16 v5, v5, v18 op_sel:[0,1] op_sel_hi:[1,0] neg_lo:[0,1] neg_hi:[0,1]
	s_delay_alu instid0(VALU_DEP_3) | instskip(SKIP_1) | instid1(VALU_DEP_3)
	v_bfi_b32 v10, 0xffff, v10, v15
	v_add_nc_u32_e32 v15, v47, v26
	v_bfi_b32 v5, 0xffff, v16, v5
	ds_store_b32 v17, v10
	ds_store_b32 v22, v5 offset:4536
	ds_load_b32 v5, v15
	ds_load_b32 v10, v22 offset:4284
	s_wait_dscnt 0x0
	v_pk_add_f16 v16, v5, v10 neg_lo:[0,1] neg_hi:[0,1]
	v_pk_add_f16 v5, v5, v10
	s_delay_alu instid0(VALU_DEP_1) | instskip(SKIP_1) | instid1(VALU_DEP_2)
	v_bfi_b32 v10, 0xffff, v16, v5
	v_bfi_b32 v5, 0xffff, v5, v16
	v_pk_mul_f16 v10, v10, 0.5 op_sel_hi:[1,0]
	s_delay_alu instid0(VALU_DEP_2) | instskip(SKIP_1) | instid1(VALU_DEP_2)
	v_pk_mul_f16 v5, v5, 0.5 op_sel_hi:[1,0]
	s_wait_loadcnt 0x4
	v_pk_mul_f16 v17, v13, v10 op_sel_hi:[0,1]
	s_delay_alu instid0(VALU_DEP_2) | instskip(SKIP_2) | instid1(VALU_DEP_3)
	v_pk_fma_f16 v16, v13, v10, v5 op_sel:[1,0,0]
	v_pk_fma_f16 v18, v13, v10, v5 op_sel:[1,0,0] neg_lo:[1,0,0] neg_hi:[1,0,0]
	v_pk_fma_f16 v5, v13, v10, v5 op_sel:[1,0,0] neg_lo:[0,0,1] neg_hi:[0,0,1]
	v_pk_add_f16 v10, v16, v17 op_sel:[0,1] op_sel_hi:[1,0]
	v_pk_add_f16 v13, v16, v17 op_sel:[0,1] op_sel_hi:[1,0] neg_lo:[0,1] neg_hi:[0,1]
	s_delay_alu instid0(VALU_DEP_4) | instskip(NEXT) | instid1(VALU_DEP_4)
	v_pk_add_f16 v16, v18, v17 op_sel:[0,1] op_sel_hi:[1,0] neg_lo:[0,1] neg_hi:[0,1]
	v_pk_add_f16 v5, v5, v17 op_sel:[0,1] op_sel_hi:[1,0] neg_lo:[0,1] neg_hi:[0,1]
	s_delay_alu instid0(VALU_DEP_3) | instskip(SKIP_1) | instid1(VALU_DEP_3)
	v_bfi_b32 v10, 0xffff, v10, v13
	v_add_nc_u32_e32 v13, v48, v25
	v_bfi_b32 v5, 0xffff, v16, v5
	ds_store_b32 v15, v10
	ds_store_b32 v22, v5 offset:4284
	ds_load_b32 v5, v13
	ds_load_b32 v10, v22 offset:4032
	;; [unrolled: 28-line block ×3, first 2 shown]
	s_wait_dscnt 0x0
	v_pk_add_f16 v13, v5, v10 neg_lo:[0,1] neg_hi:[0,1]
	v_pk_add_f16 v5, v5, v10
	s_delay_alu instid0(VALU_DEP_1) | instskip(SKIP_1) | instid1(VALU_DEP_2)
	v_bfi_b32 v10, 0xffff, v13, v5
	v_bfi_b32 v5, 0xffff, v5, v13
	v_pk_mul_f16 v10, v10, 0.5 op_sel_hi:[1,0]
	s_delay_alu instid0(VALU_DEP_2) | instskip(SKIP_1) | instid1(VALU_DEP_1)
	v_pk_mul_f16 v5, v5, 0.5 op_sel_hi:[1,0]
	s_wait_loadcnt 0x2
	v_pk_fma_f16 v13, v12, v10, v5 op_sel:[1,0,0]
	v_pk_mul_f16 v15, v12, v10 op_sel_hi:[0,1]
	v_pk_fma_f16 v16, v12, v10, v5 op_sel:[1,0,0] neg_lo:[1,0,0] neg_hi:[1,0,0]
	v_pk_fma_f16 v5, v12, v10, v5 op_sel:[1,0,0] neg_lo:[0,0,1] neg_hi:[0,0,1]
	s_delay_alu instid0(VALU_DEP_3) | instskip(SKIP_1) | instid1(VALU_DEP_4)
	v_pk_add_f16 v10, v13, v15 op_sel:[0,1] op_sel_hi:[1,0]
	v_pk_add_f16 v12, v13, v15 op_sel:[0,1] op_sel_hi:[1,0] neg_lo:[0,1] neg_hi:[0,1]
	v_pk_add_f16 v13, v16, v15 op_sel:[0,1] op_sel_hi:[1,0] neg_lo:[0,1] neg_hi:[0,1]
	s_delay_alu instid0(VALU_DEP_4) | instskip(NEXT) | instid1(VALU_DEP_3)
	v_pk_add_f16 v5, v5, v15 op_sel:[0,1] op_sel_hi:[1,0] neg_lo:[0,1] neg_hi:[0,1]
	v_bfi_b32 v10, 0xffff, v10, v12
	v_add_nc_u32_e32 v12, v46, v23
	s_delay_alu instid0(VALU_DEP_3)
	v_bfi_b32 v5, 0xffff, v13, v5
	ds_store_b32 v14, v10
	ds_store_b32 v22, v5 offset:3780
	ds_load_b32 v5, v12
	ds_load_b32 v10, v22 offset:3528
	s_wait_dscnt 0x0
	v_pk_add_f16 v13, v5, v10 neg_lo:[0,1] neg_hi:[0,1]
	v_pk_add_f16 v5, v5, v10
	s_delay_alu instid0(VALU_DEP_1) | instskip(SKIP_1) | instid1(VALU_DEP_2)
	v_bfi_b32 v10, 0xffff, v13, v5
	v_bfi_b32 v5, 0xffff, v5, v13
	v_pk_mul_f16 v10, v10, 0.5 op_sel_hi:[1,0]
	s_delay_alu instid0(VALU_DEP_2) | instskip(SKIP_1) | instid1(VALU_DEP_2)
	v_pk_mul_f16 v5, v5, 0.5 op_sel_hi:[1,0]
	s_wait_loadcnt 0x1
	v_pk_mul_f16 v14, v11, v10 op_sel_hi:[0,1]
	s_delay_alu instid0(VALU_DEP_2) | instskip(SKIP_2) | instid1(VALU_DEP_3)
	v_pk_fma_f16 v13, v11, v10, v5 op_sel:[1,0,0]
	v_pk_fma_f16 v15, v11, v10, v5 op_sel:[1,0,0] neg_lo:[1,0,0] neg_hi:[1,0,0]
	v_pk_fma_f16 v5, v11, v10, v5 op_sel:[1,0,0] neg_lo:[0,0,1] neg_hi:[0,0,1]
	v_pk_add_f16 v10, v13, v14 op_sel:[0,1] op_sel_hi:[1,0]
	v_pk_add_f16 v11, v13, v14 op_sel:[0,1] op_sel_hi:[1,0] neg_lo:[0,1] neg_hi:[0,1]
	s_delay_alu instid0(VALU_DEP_4) | instskip(NEXT) | instid1(VALU_DEP_4)
	v_pk_add_f16 v13, v15, v14 op_sel:[0,1] op_sel_hi:[1,0] neg_lo:[0,1] neg_hi:[0,1]
	v_pk_add_f16 v5, v5, v14 op_sel:[0,1] op_sel_hi:[1,0] neg_lo:[0,1] neg_hi:[0,1]
	s_delay_alu instid0(VALU_DEP_3) | instskip(NEXT) | instid1(VALU_DEP_2)
	v_bfi_b32 v10, 0xffff, v10, v11
	v_bfi_b32 v5, 0xffff, v13, v5
	ds_store_b32 v12, v10
	ds_store_b32 v22, v5 offset:3528
	ds_load_b32 v4, v0
	ds_load_b32 v5, v22 offset:3276
	s_wait_dscnt 0x0
	v_pk_add_f16 v10, v4, v5 neg_lo:[0,1] neg_hi:[0,1]
	v_pk_add_f16 v4, v4, v5
	s_delay_alu instid0(VALU_DEP_1) | instskip(SKIP_1) | instid1(VALU_DEP_2)
	v_bfi_b32 v5, 0xffff, v10, v4
	v_bfi_b32 v4, 0xffff, v4, v10
	v_pk_mul_f16 v5, v5, 0.5 op_sel_hi:[1,0]
	s_delay_alu instid0(VALU_DEP_2) | instskip(SKIP_1) | instid1(VALU_DEP_2)
	v_pk_mul_f16 v4, v4, 0.5 op_sel_hi:[1,0]
	s_wait_loadcnt 0x0
	v_pk_mul_f16 v11, v9, v5 op_sel_hi:[0,1]
	s_delay_alu instid0(VALU_DEP_2) | instskip(SKIP_2) | instid1(VALU_DEP_3)
	v_pk_fma_f16 v10, v9, v5, v4 op_sel:[1,0,0]
	v_pk_fma_f16 v12, v9, v5, v4 op_sel:[1,0,0] neg_lo:[1,0,0] neg_hi:[1,0,0]
	v_pk_fma_f16 v4, v9, v5, v4 op_sel:[1,0,0] neg_lo:[0,0,1] neg_hi:[0,0,1]
	v_pk_add_f16 v5, v10, v11 op_sel:[0,1] op_sel_hi:[1,0]
	v_pk_add_f16 v9, v10, v11 op_sel:[0,1] op_sel_hi:[1,0] neg_lo:[0,1] neg_hi:[0,1]
	s_delay_alu instid0(VALU_DEP_4) | instskip(NEXT) | instid1(VALU_DEP_4)
	v_pk_add_f16 v10, v12, v11 op_sel:[0,1] op_sel_hi:[1,0] neg_lo:[0,1] neg_hi:[0,1]
	v_pk_add_f16 v4, v4, v11 op_sel:[0,1] op_sel_hi:[1,0] neg_lo:[0,1] neg_hi:[0,1]
	s_delay_alu instid0(VALU_DEP_3) | instskip(NEXT) | instid1(VALU_DEP_2)
	v_bfi_b32 v5, 0xffff, v5, v9
	v_bfi_b32 v4, 0xffff, v10, v4
	ds_store_b32 v0, v5
	ds_store_b32 v22, v4 offset:3276
	global_wb scope:SCOPE_SE
	s_wait_dscnt 0x0
	s_barrier_signal -1
	s_barrier_wait -1
	global_inv scope:SCOPE_SE
	s_and_saveexec_b32 s0, vcc_lo
	s_cbranch_execz .LBB0_24
; %bb.22:
	v_mul_lo_u32 v0, s3, v7
	v_mul_lo_u32 v4, s2, v8
	v_mad_co_u64_u32 v[7:8], null, s2, v7, 0
	v_lshl_add_u32 v33, v3, 2, 0
	v_add_nc_u32_e32 v5, 63, v3
	ds_load_2addr_b32 v[9:10], v33 offset1:63
	v_add3_u32 v8, v8, v4, v0
	v_mov_b32_e32 v4, v6
	v_lshlrev_b64_e32 v[0:1], 2, v[1:2]
	v_lshlrev_b64_e32 v[13:14], 2, v[5:6]
	v_add_nc_u32_e32 v5, 0x7e, v3
	v_lshlrev_b64_e32 v[7:8], 2, v[7:8]
	v_lshlrev_b64_e32 v[11:12], 2, v[3:4]
	ds_load_2addr_b32 v[15:16], v33 offset0:126 offset1:189
	v_add_co_u32 v2, vcc_lo, s6, v7
	s_wait_alu 0xfffd
	v_add_co_ci_u32_e32 v4, vcc_lo, s7, v8, vcc_lo
	v_lshlrev_b64_e32 v[7:8], 2, v[5:6]
	v_add_nc_u32_e32 v5, 0xbd, v3
	v_add_co_u32 v0, vcc_lo, v2, v0
	s_wait_alu 0xfffd
	v_add_co_ci_u32_e32 v1, vcc_lo, v4, v1, vcc_lo
	s_delay_alu instid0(VALU_DEP_3)
	v_lshlrev_b64_e32 v[17:18], 2, v[5:6]
	v_add_nc_u32_e32 v5, 0xfc, v3
	v_add_nc_u32_e32 v2, 0x200, v33
	v_add_co_u32 v11, vcc_lo, v0, v11
	s_wait_alu 0xfffd
	v_add_co_ci_u32_e32 v12, vcc_lo, v1, v12, vcc_lo
	v_lshlrev_b64_e32 v[19:20], 2, v[5:6]
	v_add_nc_u32_e32 v5, 0x13b, v3
	v_add_co_u32 v13, vcc_lo, v0, v13
	ds_load_2addr_b32 v[21:22], v2 offset0:124 offset1:187
	v_add_nc_u32_e32 v2, 0x400, v33
	v_lshlrev_b64_e32 v[23:24], 2, v[5:6]
	v_add_nc_u32_e32 v5, 0x17a, v3
	s_wait_alu 0xfffd
	v_add_co_ci_u32_e32 v14, vcc_lo, v1, v14, vcc_lo
	v_add_co_u32 v7, vcc_lo, v0, v7
	s_wait_alu 0xfffd
	v_add_co_ci_u32_e32 v8, vcc_lo, v1, v8, vcc_lo
	v_lshlrev_b64_e32 v[25:26], 2, v[5:6]
	v_add_nc_u32_e32 v5, 0x1b9, v3
	v_add_co_u32 v17, vcc_lo, v0, v17
	ds_load_2addr_b32 v[27:28], v2 offset0:122 offset1:185
	s_wait_alu 0xfffd
	v_add_co_ci_u32_e32 v18, vcc_lo, v1, v18, vcc_lo
	v_add_co_u32 v19, vcc_lo, v0, v19
	v_lshlrev_b64_e32 v[29:30], 2, v[5:6]
	v_add_nc_u32_e32 v5, 0x1f8, v3
	s_wait_alu 0xfffd
	v_add_co_ci_u32_e32 v20, vcc_lo, v1, v20, vcc_lo
	v_add_co_u32 v23, vcc_lo, v0, v23
	s_wait_alu 0xfffd
	v_add_co_ci_u32_e32 v24, vcc_lo, v1, v24, vcc_lo
	v_add_co_u32 v25, vcc_lo, v0, v25
	v_lshlrev_b64_e32 v[31:32], 2, v[5:6]
	v_add_nc_u32_e32 v5, 0x237, v3
	s_wait_alu 0xfffd
	v_add_co_ci_u32_e32 v26, vcc_lo, v1, v26, vcc_lo
	v_add_co_u32 v29, vcc_lo, v0, v29
	s_wait_alu 0xfffd
	v_add_co_ci_u32_e32 v30, vcc_lo, v1, v30, vcc_lo
	s_wait_dscnt 0x3
	s_clause 0x1
	global_store_b32 v[11:12], v9, off
	global_store_b32 v[13:14], v10, off
	s_wait_dscnt 0x2
	s_clause 0x1
	global_store_b32 v[7:8], v15, off
	global_store_b32 v[17:18], v16, off
	;; [unrolled: 4-line block ×4, first 2 shown]
	v_lshlrev_b64_e32 v[9:10], 2, v[5:6]
	v_add_nc_u32_e32 v5, 0x276, v3
	v_add_nc_u32_e32 v2, 0x600, v33
	v_add_co_u32 v11, vcc_lo, v0, v31
	s_wait_alu 0xfffd
	v_add_co_ci_u32_e32 v12, vcc_lo, v1, v32, vcc_lo
	v_lshlrev_b64_e32 v[13:14], 2, v[5:6]
	v_add_nc_u32_e32 v5, 0x2b5, v3
	ds_load_2addr_b32 v[7:8], v2 offset0:120 offset1:183
	v_add_nc_u32_e32 v2, 0x800, v33
	v_add_co_u32 v9, vcc_lo, v0, v9
	v_lshlrev_b64_e32 v[17:18], 2, v[5:6]
	v_add_nc_u32_e32 v5, 0x2f4, v3
	ds_load_2addr_b32 v[15:16], v2 offset0:118 offset1:181
	v_add_nc_u32_e32 v2, 0xa00, v33
	s_wait_alu 0xfffd
	v_add_co_ci_u32_e32 v10, vcc_lo, v1, v10, vcc_lo
	v_lshlrev_b64_e32 v[19:20], 2, v[5:6]
	v_add_nc_u32_e32 v5, 0x333, v3
	ds_load_2addr_b32 v[21:22], v2 offset0:116 offset1:179
	v_add_nc_u32_e32 v2, 0xc00, v33
	v_add_co_u32 v13, vcc_lo, v0, v13
	v_lshlrev_b64_e32 v[23:24], 2, v[5:6]
	v_add_nc_u32_e32 v5, 0x372, v3
	s_wait_alu 0xfffd
	v_add_co_ci_u32_e32 v14, vcc_lo, v1, v14, vcc_lo
	v_add_co_u32 v17, vcc_lo, v0, v17
	s_delay_alu instid0(VALU_DEP_3)
	v_lshlrev_b64_e32 v[25:26], 2, v[5:6]
	v_add_nc_u32_e32 v5, 0x3b1, v3
	ds_load_2addr_b32 v[27:28], v2 offset0:114 offset1:177
	s_wait_alu 0xfffd
	v_add_co_ci_u32_e32 v18, vcc_lo, v1, v18, vcc_lo
	v_add_co_u32 v19, vcc_lo, v0, v19
	v_lshlrev_b64_e32 v[29:30], 2, v[5:6]
	v_add_nc_u32_e32 v5, 0x3f0, v3
	s_wait_alu 0xfffd
	v_add_co_ci_u32_e32 v20, vcc_lo, v1, v20, vcc_lo
	v_add_co_u32 v23, vcc_lo, v0, v23
	s_wait_alu 0xfffd
	v_add_co_ci_u32_e32 v24, vcc_lo, v1, v24, vcc_lo
	v_add_co_u32 v25, vcc_lo, v0, v25
	v_lshlrev_b64_e32 v[31:32], 2, v[5:6]
	v_add_nc_u32_e32 v5, 0x42f, v3
	s_wait_alu 0xfffd
	v_add_co_ci_u32_e32 v26, vcc_lo, v1, v26, vcc_lo
	v_add_co_u32 v29, vcc_lo, v0, v29
	s_wait_alu 0xfffd
	v_add_co_ci_u32_e32 v30, vcc_lo, v1, v30, vcc_lo
	s_wait_dscnt 0x3
	s_clause 0x1
	global_store_b32 v[11:12], v7, off
	global_store_b32 v[9:10], v8, off
	s_wait_dscnt 0x2
	s_clause 0x1
	global_store_b32 v[13:14], v15, off
	global_store_b32 v[17:18], v16, off
	;; [unrolled: 4-line block ×4, first 2 shown]
	v_lshlrev_b64_e32 v[9:10], 2, v[5:6]
	v_add_nc_u32_e32 v5, 0x46e, v3
	v_add_nc_u32_e32 v2, 0xe00, v33
	v_add_co_u32 v11, vcc_lo, v0, v31
	s_wait_alu 0xfffd
	v_add_co_ci_u32_e32 v12, vcc_lo, v1, v32, vcc_lo
	v_lshlrev_b64_e32 v[13:14], 2, v[5:6]
	v_add_nc_u32_e32 v5, 0x4ad, v3
	ds_load_2addr_b32 v[7:8], v2 offset0:112 offset1:175
	v_add_nc_u32_e32 v2, 0x1000, v33
	v_add_co_u32 v9, vcc_lo, v0, v9
	v_lshlrev_b64_e32 v[17:18], 2, v[5:6]
	v_add_nc_u32_e32 v5, 0x4ec, v3
	s_wait_alu 0xfffd
	v_add_co_ci_u32_e32 v10, vcc_lo, v1, v10, vcc_lo
	ds_load_2addr_b32 v[15:16], v2 offset0:110 offset1:173
	v_add_nc_u32_e32 v2, 0x1200, v33
	v_lshlrev_b64_e32 v[19:20], 2, v[5:6]
	v_add_nc_u32_e32 v5, 0x52b, v3
	v_add_co_u32 v13, vcc_lo, v0, v13
	s_wait_alu 0xfffd
	v_add_co_ci_u32_e32 v14, vcc_lo, v1, v14, vcc_lo
	s_delay_alu instid0(VALU_DEP_3)
	v_lshlrev_b64_e32 v[23:24], 2, v[5:6]
	v_add_nc_u32_e32 v5, 0x56a, v3
	v_add_co_u32 v17, vcc_lo, v0, v17
	ds_load_2addr_b32 v[21:22], v2 offset0:108 offset1:171
	v_add_nc_u32_e32 v2, 0x1400, v33
	v_lshlrev_b64_e32 v[27:28], 2, v[5:6]
	v_add_nc_u32_e32 v5, 0x5a9, v3
	s_wait_alu 0xfffd
	v_add_co_ci_u32_e32 v18, vcc_lo, v1, v18, vcc_lo
	v_add_co_u32 v19, vcc_lo, v0, v19
	s_wait_alu 0xfffd
	v_add_co_ci_u32_e32 v20, vcc_lo, v1, v20, vcc_lo
	ds_load_2addr_b32 v[25:26], v2 offset0:106 offset1:169
	v_add_co_u32 v23, vcc_lo, v0, v23
	v_lshlrev_b64_e32 v[4:5], 2, v[5:6]
	s_wait_alu 0xfffd
	v_add_co_ci_u32_e32 v24, vcc_lo, v1, v24, vcc_lo
	v_add_co_u32 v27, vcc_lo, v0, v27
	s_wait_alu 0xfffd
	v_add_co_ci_u32_e32 v28, vcc_lo, v1, v28, vcc_lo
	v_add_co_u32 v4, vcc_lo, v0, v4
	s_wait_alu 0xfffd
	v_add_co_ci_u32_e32 v5, vcc_lo, v1, v5, vcc_lo
	v_cmp_eq_u32_e32 vcc_lo, 62, v3
	s_wait_dscnt 0x3
	s_clause 0x1
	global_store_b32 v[11:12], v7, off
	global_store_b32 v[9:10], v8, off
	s_wait_dscnt 0x2
	s_clause 0x1
	global_store_b32 v[13:14], v15, off
	global_store_b32 v[17:18], v16, off
	;; [unrolled: 4-line block ×4, first 2 shown]
	s_and_b32 exec_lo, exec_lo, vcc_lo
	s_cbranch_execz .LBB0_24
; %bb.23:
	v_mov_b32_e32 v2, 0
	ds_load_b32 v2, v2 offset:6048
	s_wait_dscnt 0x0
	global_store_b32 v[0:1], v2, off offset:6048
.LBB0_24:
	s_nop 0
	s_sendmsg sendmsg(MSG_DEALLOC_VGPRS)
	s_endpgm
	.section	.rodata,"a",@progbits
	.p2align	6, 0x0
	.amdhsa_kernel fft_rtc_fwd_len1512_factors_2_2_2_3_3_3_7_wgs_63_tpt_63_halfLds_half_op_CI_CI_unitstride_sbrr_R2C_dirReg
		.amdhsa_group_segment_fixed_size 0
		.amdhsa_private_segment_fixed_size 0
		.amdhsa_kernarg_size 104
		.amdhsa_user_sgpr_count 2
		.amdhsa_user_sgpr_dispatch_ptr 0
		.amdhsa_user_sgpr_queue_ptr 0
		.amdhsa_user_sgpr_kernarg_segment_ptr 1
		.amdhsa_user_sgpr_dispatch_id 0
		.amdhsa_user_sgpr_private_segment_size 0
		.amdhsa_wavefront_size32 1
		.amdhsa_uses_dynamic_stack 0
		.amdhsa_enable_private_segment 0
		.amdhsa_system_sgpr_workgroup_id_x 1
		.amdhsa_system_sgpr_workgroup_id_y 0
		.amdhsa_system_sgpr_workgroup_id_z 0
		.amdhsa_system_sgpr_workgroup_info 0
		.amdhsa_system_vgpr_workitem_id 0
		.amdhsa_next_free_vgpr 132
		.amdhsa_next_free_sgpr 39
		.amdhsa_reserve_vcc 1
		.amdhsa_float_round_mode_32 0
		.amdhsa_float_round_mode_16_64 0
		.amdhsa_float_denorm_mode_32 3
		.amdhsa_float_denorm_mode_16_64 3
		.amdhsa_fp16_overflow 0
		.amdhsa_workgroup_processor_mode 1
		.amdhsa_memory_ordered 1
		.amdhsa_forward_progress 0
		.amdhsa_round_robin_scheduling 0
		.amdhsa_exception_fp_ieee_invalid_op 0
		.amdhsa_exception_fp_denorm_src 0
		.amdhsa_exception_fp_ieee_div_zero 0
		.amdhsa_exception_fp_ieee_overflow 0
		.amdhsa_exception_fp_ieee_underflow 0
		.amdhsa_exception_fp_ieee_inexact 0
		.amdhsa_exception_int_div_zero 0
	.end_amdhsa_kernel
	.text
.Lfunc_end0:
	.size	fft_rtc_fwd_len1512_factors_2_2_2_3_3_3_7_wgs_63_tpt_63_halfLds_half_op_CI_CI_unitstride_sbrr_R2C_dirReg, .Lfunc_end0-fft_rtc_fwd_len1512_factors_2_2_2_3_3_3_7_wgs_63_tpt_63_halfLds_half_op_CI_CI_unitstride_sbrr_R2C_dirReg
                                        ; -- End function
	.section	.AMDGPU.csdata,"",@progbits
; Kernel info:
; codeLenInByte = 20656
; NumSgprs: 41
; NumVgprs: 132
; ScratchSize: 0
; MemoryBound: 0
; FloatMode: 240
; IeeeMode: 1
; LDSByteSize: 0 bytes/workgroup (compile time only)
; SGPRBlocks: 5
; VGPRBlocks: 16
; NumSGPRsForWavesPerEU: 41
; NumVGPRsForWavesPerEU: 132
; Occupancy: 10
; WaveLimiterHint : 1
; COMPUTE_PGM_RSRC2:SCRATCH_EN: 0
; COMPUTE_PGM_RSRC2:USER_SGPR: 2
; COMPUTE_PGM_RSRC2:TRAP_HANDLER: 0
; COMPUTE_PGM_RSRC2:TGID_X_EN: 1
; COMPUTE_PGM_RSRC2:TGID_Y_EN: 0
; COMPUTE_PGM_RSRC2:TGID_Z_EN: 0
; COMPUTE_PGM_RSRC2:TIDIG_COMP_CNT: 0
	.text
	.p2alignl 7, 3214868480
	.fill 96, 4, 3214868480
	.type	__hip_cuid_3bd550a7faaf060d,@object ; @__hip_cuid_3bd550a7faaf060d
	.section	.bss,"aw",@nobits
	.globl	__hip_cuid_3bd550a7faaf060d
__hip_cuid_3bd550a7faaf060d:
	.byte	0                               ; 0x0
	.size	__hip_cuid_3bd550a7faaf060d, 1

	.ident	"AMD clang version 19.0.0git (https://github.com/RadeonOpenCompute/llvm-project roc-6.4.0 25133 c7fe45cf4b819c5991fe208aaa96edf142730f1d)"
	.section	".note.GNU-stack","",@progbits
	.addrsig
	.addrsig_sym __hip_cuid_3bd550a7faaf060d
	.amdgpu_metadata
---
amdhsa.kernels:
  - .args:
      - .actual_access:  read_only
        .address_space:  global
        .offset:         0
        .size:           8
        .value_kind:     global_buffer
      - .offset:         8
        .size:           8
        .value_kind:     by_value
      - .actual_access:  read_only
        .address_space:  global
        .offset:         16
        .size:           8
        .value_kind:     global_buffer
      - .actual_access:  read_only
        .address_space:  global
        .offset:         24
        .size:           8
        .value_kind:     global_buffer
      - .actual_access:  read_only
        .address_space:  global
        .offset:         32
        .size:           8
        .value_kind:     global_buffer
      - .offset:         40
        .size:           8
        .value_kind:     by_value
      - .actual_access:  read_only
        .address_space:  global
        .offset:         48
        .size:           8
        .value_kind:     global_buffer
      - .actual_access:  read_only
        .address_space:  global
        .offset:         56
        .size:           8
        .value_kind:     global_buffer
      - .offset:         64
        .size:           4
        .value_kind:     by_value
      - .actual_access:  read_only
        .address_space:  global
        .offset:         72
        .size:           8
        .value_kind:     global_buffer
      - .actual_access:  read_only
        .address_space:  global
        .offset:         80
        .size:           8
        .value_kind:     global_buffer
      - .actual_access:  read_only
        .address_space:  global
        .offset:         88
        .size:           8
        .value_kind:     global_buffer
      - .actual_access:  write_only
        .address_space:  global
        .offset:         96
        .size:           8
        .value_kind:     global_buffer
    .group_segment_fixed_size: 0
    .kernarg_segment_align: 8
    .kernarg_segment_size: 104
    .language:       OpenCL C
    .language_version:
      - 2
      - 0
    .max_flat_workgroup_size: 63
    .name:           fft_rtc_fwd_len1512_factors_2_2_2_3_3_3_7_wgs_63_tpt_63_halfLds_half_op_CI_CI_unitstride_sbrr_R2C_dirReg
    .private_segment_fixed_size: 0
    .sgpr_count:     41
    .sgpr_spill_count: 0
    .symbol:         fft_rtc_fwd_len1512_factors_2_2_2_3_3_3_7_wgs_63_tpt_63_halfLds_half_op_CI_CI_unitstride_sbrr_R2C_dirReg.kd
    .uniform_work_group_size: 1
    .uses_dynamic_stack: false
    .vgpr_count:     132
    .vgpr_spill_count: 0
    .wavefront_size: 32
    .workgroup_processor_mode: 1
amdhsa.target:   amdgcn-amd-amdhsa--gfx1201
amdhsa.version:
  - 1
  - 2
...

	.end_amdgpu_metadata
